;; amdgpu-corpus repo=ROCm/rocFFT kind=compiled arch=gfx1201 opt=O3
	.text
	.amdgcn_target "amdgcn-amd-amdhsa--gfx1201"
	.amdhsa_code_object_version 6
	.protected	bluestein_single_fwd_len1155_dim1_half_op_CI_CI ; -- Begin function bluestein_single_fwd_len1155_dim1_half_op_CI_CI
	.globl	bluestein_single_fwd_len1155_dim1_half_op_CI_CI
	.p2align	8
	.type	bluestein_single_fwd_len1155_dim1_half_op_CI_CI,@function
bluestein_single_fwd_len1155_dim1_half_op_CI_CI: ; @bluestein_single_fwd_len1155_dim1_half_op_CI_CI
; %bb.0:
	s_load_b128 s[12:15], s[0:1], 0x28
	v_mul_u32_u24_e32 v1, 0x4a8, v0
	s_mov_b32 s2, exec_lo
	v_mov_b32_e32 v31, 0
	s_delay_alu instid0(VALU_DEP_2) | instskip(NEXT) | instid1(VALU_DEP_1)
	v_lshrrev_b32_e32 v1, 16, v1
	v_add_nc_u32_e32 v30, ttmp9, v1
	s_wait_kmcnt 0x0
	s_delay_alu instid0(VALU_DEP_1)
	v_cmpx_gt_u64_e64 s[12:13], v[30:31]
	s_cbranch_execz .LBB0_23
; %bb.1:
	s_clause 0x1
	s_load_b128 s[4:7], s[0:1], 0x18
	s_load_b64 s[12:13], s[0:1], 0x0
	v_mul_lo_u16 v1, v1, 55
	s_delay_alu instid0(VALU_DEP_1) | instskip(NEXT) | instid1(VALU_DEP_1)
	v_sub_nc_u16 v7, v0, v1
	v_and_b32_e32 v91, 0xffff, v7
	s_delay_alu instid0(VALU_DEP_1)
	v_lshlrev_b32_e32 v75, 2, v91
	s_wait_kmcnt 0x0
	s_load_b128 s[8:11], s[4:5], 0x0
	s_clause 0xa
	global_load_b32 v96, v75, s[12:13]
	global_load_b32 v94, v75, s[12:13] offset:420
	global_load_b32 v92, v75, s[12:13] offset:840
	;; [unrolled: 1-line block ×10, first 2 shown]
	s_wait_kmcnt 0x0
	v_mad_co_u64_u32 v[0:1], null, s10, v30, 0
	v_mad_co_u64_u32 v[2:3], null, s8, v91, 0
	s_mul_u64 s[2:3], s[8:9], 0x69
	s_delay_alu instid0(VALU_DEP_1) | instskip(NEXT) | instid1(VALU_DEP_2)
	v_mad_co_u64_u32 v[4:5], null, s11, v30, v[1:2]
	v_mov_b32_e32 v1, v3
	s_delay_alu instid0(VALU_DEP_1) | instskip(NEXT) | instid1(VALU_DEP_3)
	v_mad_co_u64_u32 v[5:6], null, s9, v91, v[1:2]
	v_mov_b32_e32 v1, v4
	s_delay_alu instid0(VALU_DEP_1) | instskip(NEXT) | instid1(VALU_DEP_3)
	v_lshlrev_b64_e32 v[0:1], 2, v[0:1]
	v_mov_b32_e32 v3, v5
	s_delay_alu instid0(VALU_DEP_1) | instskip(NEXT) | instid1(VALU_DEP_3)
	v_lshlrev_b64_e32 v[2:3], 2, v[2:3]
	v_add_co_u32 v0, vcc_lo, s14, v0
	s_delay_alu instid0(VALU_DEP_4) | instskip(SKIP_1) | instid1(VALU_DEP_2)
	v_add_co_ci_u32_e32 v1, vcc_lo, s15, v1, vcc_lo
	s_lshl_b64 s[14:15], s[2:3], 2
	v_add_co_u32 v0, vcc_lo, v0, v2
	s_wait_alu 0xfffd
	s_delay_alu instid0(VALU_DEP_2)
	v_add_co_ci_u32_e32 v1, vcc_lo, v1, v3, vcc_lo
	v_add_co_u32 v28, s2, s12, v75
	s_wait_alu 0xfffe
	v_add_co_u32 v2, vcc_lo, v0, s14
	s_wait_alu 0xfffd
	v_add_co_ci_u32_e32 v3, vcc_lo, s15, v1, vcc_lo
	global_load_b32 v4, v[0:1], off
	v_add_co_ci_u32_e64 v29, null, s13, 0, s2
	global_load_b32 v5, v[2:3], off
	v_add_co_u32 v0, vcc_lo, v2, s14
	s_wait_alu 0xfffd
	v_add_co_ci_u32_e32 v1, vcc_lo, s15, v3, vcc_lo
	s_delay_alu instid0(VALU_DEP_2) | instskip(SKIP_1) | instid1(VALU_DEP_2)
	v_add_co_u32 v2, vcc_lo, v0, s14
	s_wait_alu 0xfffd
	v_add_co_ci_u32_e32 v3, vcc_lo, s15, v1, vcc_lo
	s_clause 0x1
	global_load_b32 v6, v[0:1], off
	global_load_b32 v8, v[2:3], off
	v_add_co_u32 v0, vcc_lo, v2, s14
	s_wait_alu 0xfffd
	v_add_co_ci_u32_e32 v1, vcc_lo, s15, v3, vcc_lo
	s_delay_alu instid0(VALU_DEP_2) | instskip(SKIP_1) | instid1(VALU_DEP_2)
	v_add_co_u32 v2, vcc_lo, v0, s14
	s_wait_alu 0xfffd
	v_add_co_ci_u32_e32 v3, vcc_lo, s15, v1, vcc_lo
	global_load_b32 v9, v[0:1], off
	global_load_b32 v10, v[2:3], off
	v_add_co_u32 v0, vcc_lo, v2, s14
	s_wait_alu 0xfffd
	v_add_co_ci_u32_e32 v1, vcc_lo, s15, v3, vcc_lo
	s_delay_alu instid0(VALU_DEP_2) | instskip(SKIP_1) | instid1(VALU_DEP_2)
	v_add_co_u32 v2, vcc_lo, v0, s14
	s_wait_alu 0xfffd
	v_add_co_ci_u32_e32 v3, vcc_lo, s15, v1, vcc_lo
	global_load_b32 v11, v[0:1], off
	v_add_co_u32 v0, vcc_lo, v2, s14
	s_wait_alu 0xfffd
	v_add_co_ci_u32_e32 v1, vcc_lo, s15, v3, vcc_lo
	global_load_b32 v12, v[2:3], off
	;; [unrolled: 4-line block ×4, first 2 shown]
	global_load_b32 v15, v[0:1], off
	s_load_b64 s[10:11], s[0:1], 0x38
	s_load_b128 s[4:7], s[6:7], 0x0
	v_add_nc_u32_e32 v2, 0x200, v75
	v_add_nc_u32_e32 v3, 0x600, v75
	v_cmp_gt_u16_e32 vcc_lo, 50, v7
	s_wait_loadcnt 0x15
	v_lshrrev_b32_e32 v98, 16, v96
	s_wait_loadcnt 0x14
	v_lshrrev_b32_e32 v97, 16, v94
	;; [unrolled: 2-line block ×12, first 2 shown]
	v_mul_f16_e32 v17, v98, v4
	s_wait_loadcnt 0x9
	v_lshrrev_b32_e32 v19, 16, v5
	v_mul_f16_e32 v20, v97, v5
	v_mul_f16_e32 v18, v98, v16
	v_fma_f16 v16, v96, v16, -v17
	s_delay_alu instid0(VALU_DEP_2)
	v_fmac_f16_e32 v18, v96, v4
	v_mul_f16_e32 v4, v97, v19
	v_fma_f16 v19, v94, v19, -v20
	s_wait_loadcnt 0x8
	v_lshrrev_b32_e32 v17, 16, v6
	v_mul_f16_e32 v20, v95, v6
	v_pack_b32_f16 v16, v18, v16
	v_fmac_f16_e32 v4, v94, v5
	s_wait_loadcnt 0x7
	v_lshrrev_b32_e32 v18, 16, v8
	v_mul_f16_e32 v5, v95, v17
	v_mul_f16_e32 v21, v93, v8
	v_fma_f16 v17, v92, v17, -v20
	v_pack_b32_f16 v4, v4, v19
	s_delay_alu instid0(VALU_DEP_4)
	v_fmac_f16_e32 v5, v92, v6
	v_mul_f16_e32 v6, v93, v18
	s_wait_loadcnt 0x6
	v_lshrrev_b32_e32 v19, 16, v9
	v_fma_f16 v18, v90, v18, -v21
	v_mul_f16_e32 v20, v89, v9
	ds_store_2addr_b32 v75, v16, v4 offset1:105
	v_pack_b32_f16 v4, v5, v17
	v_fmac_f16_e32 v6, v90, v8
	v_mul_f16_e32 v5, v89, v19
	s_wait_loadcnt 0x5
	v_lshrrev_b32_e32 v8, 16, v10
	v_mul_f16_e32 v16, v88, v10
	v_fma_f16 v17, v87, v19, -v20
	v_pack_b32_f16 v6, v6, v18
	v_fmac_f16_e32 v5, v87, v9
	v_mul_f16_e32 v9, v88, v8
	v_fma_f16 v8, v86, v8, -v16
	s_wait_loadcnt 0x4
	v_lshrrev_b32_e32 v16, 16, v11
	v_mul_f16_e32 v18, v85, v11
	ds_store_2addr_b32 v2, v4, v6 offset0:82 offset1:187
	v_pack_b32_f16 v6, v5, v17
	v_fmac_f16_e32 v9, v86, v10
	v_mul_f16_e32 v4, v85, v16
	s_wait_loadcnt 0x3
	v_lshrrev_b32_e32 v5, 16, v12
	v_fma_f16 v10, v84, v16, -v18
	v_mul_f16_e32 v16, v83, v12
	v_pack_b32_f16 v8, v9, v8
	v_fmac_f16_e32 v4, v84, v11
	v_mul_f16_e32 v9, v83, v5
	s_wait_loadcnt 0x2
	v_lshrrev_b32_e32 v11, 16, v13
	v_fma_f16 v5, v82, v5, -v16
	v_mul_f16_e32 v16, v81, v13
	v_pack_b32_f16 v10, v4, v10
	v_fmac_f16_e32 v9, v82, v12
	s_wait_loadcnt 0x1
	v_lshrrev_b32_e32 v4, 16, v14
	s_wait_loadcnt 0x0
	v_lshrrev_b32_e32 v17, 16, v15
	v_mul_f16_e32 v12, v81, v11
	v_fma_f16 v11, v80, v11, -v16
	v_mul_f16_e32 v16, v79, v14
	v_pack_b32_f16 v9, v9, v5
	v_mul_f16_e32 v5, v79, v4
	v_mul_f16_e32 v18, v78, v17
	;; [unrolled: 1-line block ×3, first 2 shown]
	v_fmac_f16_e32 v12, v80, v13
	v_fma_f16 v13, v77, v4, -v16
	v_fmac_f16_e32 v5, v77, v14
	v_fmac_f16_e32 v18, v76, v15
	v_fma_f16 v14, v76, v17, -v19
	v_add_nc_u32_e32 v4, 0x800, v75
	v_pack_b32_f16 v11, v12, v11
	v_pack_b32_f16 v12, v5, v13
	v_add_nc_u32_e32 v5, 0xc00, v75
	v_pack_b32_f16 v13, v18, v14
	ds_store_2addr_b32 v3, v6, v8 offset0:36 offset1:141
	ds_store_2addr_b32 v4, v10, v9 offset0:118 offset1:223
	;; [unrolled: 1-line block ×3, first 2 shown]
	ds_store_b32 v75, v13 offset:4200
	s_and_saveexec_b32 s3, vcc_lo
	s_cbranch_execz .LBB0_3
; %bb.2:
	v_mad_co_u64_u32 v[0:1], null, 0xfffff074, s8, v[0:1]
	s_mul_i32 s2, s9, 0xfffff074
	s_wait_alu 0xfffe
	s_sub_co_i32 s2, s2, s8
	s_wait_alu 0xfffe
	s_delay_alu instid0(VALU_DEP_1) | instskip(NEXT) | instid1(VALU_DEP_2)
	v_add_nc_u32_e32 v1, s2, v1
	v_add_co_u32 v6, s2, v0, s14
	s_wait_alu 0xf1ff
	s_delay_alu instid0(VALU_DEP_2)
	v_add_co_ci_u32_e64 v7, s2, s15, v1, s2
	s_clause 0x7
	global_load_b32 v10, v[28:29], off offset:220
	global_load_b32 v11, v[28:29], off offset:640
	;; [unrolled: 1-line block ×8, first 2 shown]
	global_load_b32 v18, v[0:1], off
	global_load_b32 v19, v[6:7], off
	s_clause 0x1
	global_load_b32 v20, v[28:29], off offset:3580
	global_load_b32 v21, v[28:29], off offset:4000
	v_add_co_u32 v0, s2, v6, s14
	s_wait_alu 0xf1ff
	v_add_co_ci_u32_e64 v1, s2, s15, v7, s2
	global_load_b32 v22, v[28:29], off offset:4420
	v_add_co_u32 v6, s2, v0, s14
	s_wait_alu 0xf1ff
	v_add_co_ci_u32_e64 v7, s2, s15, v1, s2
	global_load_b32 v23, v[0:1], off
	global_load_b32 v24, v[6:7], off
	v_add_co_u32 v0, s2, v6, s14
	s_wait_alu 0xf1ff
	v_add_co_ci_u32_e64 v1, s2, s15, v7, s2
	s_delay_alu instid0(VALU_DEP_2) | instskip(SKIP_1) | instid1(VALU_DEP_2)
	v_add_co_u32 v6, s2, v0, s14
	s_wait_alu 0xf1ff
	v_add_co_ci_u32_e64 v7, s2, s15, v1, s2
	global_load_b32 v25, v[0:1], off
	v_add_co_u32 v0, s2, v6, s14
	s_wait_alu 0xf1ff
	v_add_co_ci_u32_e64 v1, s2, s15, v7, s2
	global_load_b32 v26, v[6:7], off
	;; [unrolled: 4-line block ×4, first 2 shown]
	v_add_co_u32 v6, s2, v0, s14
	s_wait_alu 0xf1ff
	v_add_co_ci_u32_e64 v7, s2, s15, v1, s2
	s_delay_alu instid0(VALU_DEP_2) | instskip(SKIP_1) | instid1(VALU_DEP_2)
	v_add_co_u32 v8, s2, v6, s14
	s_wait_alu 0xf1ff
	v_add_co_ci_u32_e64 v9, s2, s15, v7, s2
	global_load_b32 v0, v[0:1], off
	global_load_b32 v1, v[6:7], off
	;; [unrolled: 1-line block ×3, first 2 shown]
	v_add_nc_u32_e32 v7, 0x400, v75
	s_wait_loadcnt 0x15
	v_lshrrev_b32_e32 v8, 16, v10
	s_wait_loadcnt 0x14
	v_lshrrev_b32_e32 v9, 16, v11
	;; [unrolled: 2-line block ×9, first 2 shown]
	v_mul_f16_e32 v41, v8, v18
	s_wait_loadcnt 0xc
	v_lshrrev_b32_e32 v42, 16, v19
	v_mul_f16_e32 v44, v9, v19
	s_wait_loadcnt 0xb
	v_lshrrev_b32_e32 v39, 16, v20
	v_mul_f16_e32 v8, v8, v37
	v_fma_f16 v37, v10, v37, -v41
	v_mul_f16_e32 v9, v9, v42
	s_wait_loadcnt 0xa
	v_lshrrev_b32_e32 v40, 16, v21
	s_wait_loadcnt 0x9
	v_lshrrev_b32_e32 v43, 16, v22
	v_fmac_f16_e32 v8, v10, v18
	v_fma_f16 v18, v11, v42, -v44
	v_fmac_f16_e32 v9, v11, v19
	s_wait_loadcnt 0x8
	v_lshrrev_b32_e32 v10, 16, v23
	v_mul_f16_e32 v41, v32, v23
	s_wait_loadcnt 0x7
	v_lshrrev_b32_e32 v19, 16, v24
	v_pack_b32_f16 v8, v8, v37
	v_pack_b32_f16 v9, v9, v18
	v_mul_f16_e32 v11, v32, v10
	v_mul_f16_e32 v32, v33, v24
	v_fma_f16 v10, v12, v10, -v41
	ds_store_2addr_b32 v75, v8, v9 offset0:55 offset1:160
	v_fmac_f16_e32 v11, v12, v23
	v_mul_f16_e32 v12, v33, v19
	v_fma_f16 v18, v13, v19, -v32
	s_wait_loadcnt 0x6
	v_lshrrev_b32_e32 v19, 16, v25
	v_mul_f16_e32 v23, v34, v25
	v_pack_b32_f16 v8, v11, v10
	v_fmac_f16_e32 v12, v13, v24
	s_wait_loadcnt 0x5
	v_lshrrev_b32_e32 v10, 16, v26
	v_mul_f16_e32 v9, v34, v19
	v_fma_f16 v11, v14, v19, -v23
	v_mul_f16_e32 v13, v35, v26
	v_pack_b32_f16 v12, v12, v18
	s_wait_loadcnt 0x4
	v_lshrrev_b32_e32 v18, 16, v27
	v_fmac_f16_e32 v9, v14, v25
	v_mul_f16_e32 v14, v35, v10
	v_fma_f16 v10, v15, v10, -v13
	v_mul_f16_e32 v13, v36, v27
	s_wait_loadcnt 0x3
	v_mul_f16_e32 v19, v38, v31
	v_pack_b32_f16 v9, v9, v11
	v_mul_f16_e32 v11, v36, v18
	v_fmac_f16_e32 v14, v15, v26
	v_lshrrev_b32_e32 v15, 16, v31
	v_fma_f16 v13, v16, v18, -v13
	s_delay_alu instid0(VALU_DEP_4) | instskip(NEXT) | instid1(VALU_DEP_4)
	v_fmac_f16_e32 v11, v16, v27
	v_pack_b32_f16 v10, v14, v10
	s_delay_alu instid0(VALU_DEP_4)
	v_mul_f16_e32 v14, v38, v15
	s_wait_loadcnt 0x2
	v_lshrrev_b32_e32 v16, 16, v0
	v_mul_f16_e32 v18, v39, v0
	v_pack_b32_f16 v11, v11, v13
	s_wait_loadcnt 0x1
	v_lshrrev_b32_e32 v13, 16, v1
	v_fma_f16 v15, v17, v15, -v19
	v_fmac_f16_e32 v14, v17, v31
	s_wait_loadcnt 0x0
	v_lshrrev_b32_e32 v17, 16, v6
	v_mul_f16_e32 v19, v39, v16
	v_fma_f16 v16, v20, v16, -v18
	v_mul_f16_e32 v18, v40, v1
	v_mul_f16_e32 v23, v40, v13
	v_mul_f16_e32 v24, v43, v17
	v_mul_f16_e32 v25, v43, v6
	v_fmac_f16_e32 v19, v20, v0
	v_fma_f16 v0, v21, v13, -v18
	v_fmac_f16_e32 v23, v21, v1
	v_fmac_f16_e32 v24, v22, v6
	v_fma_f16 v1, v22, v17, -v25
	v_pack_b32_f16 v6, v14, v15
	v_add_nc_u32_e32 v13, 0xa00, v75
	v_pack_b32_f16 v14, v19, v16
	v_pack_b32_f16 v0, v23, v0
	;; [unrolled: 1-line block ×3, first 2 shown]
	ds_store_2addr_b32 v7, v8, v12 offset0:9 offset1:114
	ds_store_2addr_b32 v3, v9, v10 offset0:91 offset1:196
	;; [unrolled: 1-line block ×4, first 2 shown]
	ds_store_b32 v75, v1 offset:4420
.LBB0_3:
	s_wait_alu 0xfffe
	s_or_b32 exec_lo, exec_lo, s3
	global_wb scope:SCOPE_SE
	s_wait_dscnt 0x0
	s_wait_kmcnt 0x0
	s_barrier_signal -1
	s_barrier_wait -1
	global_inv scope:SCOPE_SE
	ds_load_2addr_b32 v[10:11], v75 offset1:105
	ds_load_2addr_b32 v[16:17], v2 offset0:82 offset1:187
	ds_load_2addr_b32 v[12:13], v3 offset0:36 offset1:141
	ds_load_2addr_b32 v[14:15], v4 offset0:118 offset1:223
	ds_load_2addr_b32 v[18:19], v5 offset0:72 offset1:177
	ds_load_b32 v66, v75 offset:4200
	v_mov_b32_e32 v0, 0
                                        ; kill: def $vgpr1 killed $sgpr0 killed $exec
                                        ; implicit-def: $vgpr22
                                        ; implicit-def: $vgpr3
                                        ; implicit-def: $vgpr5
                                        ; implicit-def: $vgpr7
                                        ; implicit-def: $vgpr9
	s_and_saveexec_b32 s2, vcc_lo
	s_cbranch_execz .LBB0_5
; %bb.4:
	v_add_nc_u32_e32 v2, 0x400, v75
	v_add_nc_u32_e32 v3, 0x600, v75
	;; [unrolled: 1-line block ×4, first 2 shown]
	ds_load_2addr_b32 v[0:1], v75 offset0:55 offset1:160
	ds_load_2addr_b32 v[8:9], v2 offset0:9 offset1:114
	;; [unrolled: 1-line block ×5, first 2 shown]
	ds_load_b32 v22, v75 offset:4420
.LBB0_5:
	s_wait_alu 0xfffe
	s_or_b32 exec_lo, exec_lo, s2
	s_wait_dscnt 0x0
	v_pk_add_f16 v23, v1, v22 neg_lo:[0,1] neg_hi:[0,1]
	v_pk_add_f16 v27, v22, v1
	v_pk_add_f16 v24, v8, v3 neg_lo:[0,1] neg_hi:[0,1]
	v_pk_add_f16 v31, v3, v8
	v_lshrrev_b32_e32 v35, 16, v0
	v_lshrrev_b32_e32 v48, 16, v23
	;; [unrolled: 1-line block ×3, first 2 shown]
	v_mul_f16_e32 v52, 0xbb47, v23
	v_pk_add_f16 v32, v2, v9
	v_pk_add_f16 v25, v9, v2 neg_lo:[0,1] neg_hi:[0,1]
	v_lshrrev_b32_e32 v51, 16, v24
	v_mul_f16_e32 v40, 0xb853, v48
	v_fma_f16 v33, v39, 0x36a6, -v52
	v_lshrrev_b32_e32 v37, 16, v31
	v_mul_f16_e32 v57, 0xba0c, v24
	v_pk_add_f16 v20, v10, v11
	v_pk_add_f16 v26, v6, v5 neg_lo:[0,1] neg_hi:[0,1]
	v_mul_f16_e32 v42, 0xbb47, v51
	v_fmamk_f16 v21, v27, 0x3abb, v40
	v_lshrrev_b32_e32 v56, 16, v25
	v_add_f16_e32 v33, v33, v35
	v_fma_f16 v36, v37, 0xb93d, -v57
	v_lshrrev_b32_e32 v38, 16, v32
	v_mul_f16_e32 v59, 0x3482, v25
	v_fmamk_f16 v34, v31, 0x36a6, v42
	v_add_f16_e32 v21, v21, v0
	v_mul_f16_e32 v43, 0xbbeb, v56
	v_lshrrev_b32_e32 v58, 16, v26
	v_add_f16_e32 v33, v36, v33
	v_fma_f16 v36, v38, 0xbbad, -v59
	v_pk_add_f16 v20, v20, v16
	v_pk_mul_f16 v53, 0x3abb36a6, v27
	v_add_f16_e32 v21, v34, v21
	v_fmamk_f16 v44, v32, 0xb08e, v43
	v_pk_add_f16 v34, v5, v6
	v_mul_f16_e32 v41, 0xba0c, v58
	v_add_f16_e32 v50, v36, v33
	v_pk_add_f16 v33, v7, v4 neg_lo:[0,1] neg_hi:[0,1]
	v_pk_add_f16 v20, v20, v17
	v_pk_mul_f16 v55, 0x36a6b93d, v31
	v_add_f16_e32 v21, v44, v21
	v_fmamk_f16 v44, v34, 0xb93d, v41
	v_pk_fma_f16 v45, 0xbb47b853, v23, v53 op_sel:[0,0,1] op_sel_hi:[1,1,0]
	v_lshrrev_b32_e32 v63, 16, v33
	v_pk_add_f16 v20, v20, v12
	v_pk_mul_f16 v65, 0xb08ebbad, v32
	v_pk_fma_f16 v46, 0xba0cbb47, v24, v55 op_sel:[0,0,1] op_sel_hi:[1,1,0]
	v_add_f16_e32 v21, v44, v21
	v_lshrrev_b32_e32 v44, 16, v34
	v_mul_f16_e32 v61, 0x3beb, v26
	v_lshrrev_b32_e32 v54, 16, v45
	v_pk_add_f16 v36, v4, v7
	v_mul_f16_e32 v49, 0xb482, v63
	v_pk_add_f16 v20, v20, v13
	v_pk_fma_f16 v47, 0x3482bbeb, v25, v65 op_sel:[0,0,1] op_sel_hi:[1,1,0]
	v_pk_mul_f16 v67, 0xb93db08e, v34
	v_fma_f16 v62, v44, 0xb08e, -v61
	v_add_f16_e32 v54, v54, v0
	v_lshrrev_b32_e32 v64, 16, v46
	v_fmamk_f16 v68, v36, 0xbbad, v49
	v_pk_add_f16 v20, v20, v14
	v_pk_fma_f16 v60, 0x3bebba0c, v26, v67 op_sel:[0,0,1] op_sel_hi:[1,1,0]
	v_add_f16_e32 v69, v62, v50
	v_add_f16_e32 v54, v64, v54
	v_lshrrev_b32_e32 v62, 16, v47
	v_add_f16_e32 v21, v68, v21
	v_pk_mul_f16 v68, 0xbbad3abb, v36
	v_pk_add_f16 v20, v20, v15
	v_lshrrev_b32_e32 v70, 16, v60
	v_add_f16_e32 v54, v62, v54
	v_pk_add_f16 v71, v11, v66 neg_lo:[0,1] neg_hi:[0,1]
	v_pk_fma_f16 v62, 0x3853b482, v33, v68 op_sel:[0,0,1] op_sel_hi:[1,1,0]
	v_pk_add_f16 v20, v20, v18
	v_lshrrev_b32_e32 v50, 16, v36
	v_mul_f16_e32 v64, 0x3853, v33
	v_add_f16_e32 v54, v70, v54
	v_lshrrev_b32_e32 v70, 16, v71
	v_pk_add_f16 v72, v66, v11
	v_lshrrev_b32_e32 v11, 16, v62
	v_pk_add_f16 v74, v20, v19
	v_pk_add_f16 v108, v16, v19 neg_lo:[0,1] neg_hi:[0,1]
	v_fma_f16 v73, v50, 0x3abb, -v64
	v_mul_f16_e32 v99, 0xb853, v70
	v_pk_mul_f16 v100, 0x3abb36a6, v72
	v_add_f16_e32 v20, v11, v54
	v_pk_add_f16 v11, v74, v66
	v_lshrrev_b32_e32 v74, 16, v72
	v_mul_f16_e32 v105, 0xbbeb, v71
	v_lshrrev_b32_e32 v109, 16, v108
	v_pk_add_f16 v16, v19, v16
	v_add_f16_e32 v54, v73, v69
	v_fma_f16 v66, v72, 0x3abb, -v99
	v_pk_fma_f16 v69, 0xbb47b853, v71, v100 op_sel:[0,0,1] op_sel_hi:[1,1,0] neg_lo:[0,1,0] neg_hi:[0,1,0]
	v_pk_fma_f16 v73, 0xbb47b853, v71, v100 op_sel:[0,0,1] op_sel_hi:[1,1,0]
	v_fmac_f16_e32 v99, 0x3abb, v72
	v_mul_f16_e32 v100, 0xbb47, v71
	v_fmamk_f16 v107, v74, 0xb08e, v105
	v_mul_f16_e32 v110, 0xba0c, v71
	v_fma_f16 v19, v74, 0xb08e, -v105
	v_mul_f16_e32 v105, 0xbb47, v109
	v_pk_mul_f16 v113, 0x36a6b93d, v16
	v_add_f16_e32 v66, v10, v66
	v_bfi_b32 v101, 0xffff, v73, v69
	v_add_f16_e32 v99, v10, v99
	v_lshrrev_b32_e32 v102, 16, v10
	v_fmamk_f16 v103, v74, 0x36a6, v100
	v_fma_f16 v100, v74, 0x36a6, -v100
	v_fmamk_f16 v112, v74, 0xb93d, v110
	v_fma_f16 v74, v74, 0xb93d, -v110
	v_fma_f16 v110, v16, 0x36a6, -v105
	v_pk_add_f16 v114, v18, v17
	v_pk_add_f16 v17, v17, v18 neg_lo:[0,1] neg_hi:[0,1]
	v_pk_fma_f16 v18, 0xba0cbb47, v108, v113 op_sel:[0,0,1] op_sel_hi:[1,1,0] neg_lo:[0,1,0] neg_hi:[0,1,0]
	v_pk_fma_f16 v113, 0xba0cbb47, v108, v113 op_sel:[0,0,1] op_sel_hi:[1,1,0]
	v_fmac_f16_e32 v105, 0x36a6, v16
	v_lshrrev_b32_e32 v115, 16, v16
	v_mul_f16_e32 v116, 0xba0c, v108
	v_alignbit_b32 v73, s0, v73, 16
	v_pk_add_f16 v101, v10, v101 op_sel:[1,0] op_sel_hi:[0,1]
	v_mul_f16_e32 v104, 0xbbeb, v70
	v_add_f16_e32 v103, v102, v103
	v_add_f16_e32 v66, v110, v66
	v_bfi_b32 v110, 0xffff, v113, v18
	v_add_f16_e32 v99, v105, v99
	v_fmamk_f16 v105, v115, 0xb93d, v116
	v_pk_add_f16 v73, v10, v73
	v_fma_f16 v106, v72, 0xb08e, -v104
	v_add_f16_e32 v100, v102, v100
	v_pk_add_f16 v101, v110, v101
	v_alignbit_b32 v110, s0, v113, 16
	v_mul_f16_e32 v113, 0x3482, v109
	v_add_f16_e32 v103, v105, v103
	v_fma_f16 v105, v115, 0xb93d, -v116
	v_mul_f16_e32 v116, 0x3482, v108
	v_fmac_f16_e32 v104, 0xb08e, v72
	v_add_f16_e32 v106, v10, v106
	v_add_f16_e32 v107, v102, v107
	v_mul_f16_e32 v70, 0xba0c, v70
	v_pk_add_f16 v73, v110, v73
	v_fma_f16 v110, v16, 0xbbad, -v113
	v_add_f16_e32 v100, v105, v100
	v_fmamk_f16 v105, v115, 0xbbad, v116
	v_add_f16_e32 v104, v10, v104
	v_fma_f16 v111, v72, 0xb93d, -v70
	v_add_f16_e32 v19, v102, v19
	v_add_f16_e32 v106, v110, v106
	v_fmac_f16_e32 v113, 0xbbad, v16
	v_mul_f16_e32 v109, 0x3beb, v109
	v_add_f16_e32 v105, v105, v107
	v_fma_f16 v107, v115, 0xbbad, -v116
	v_mul_f16_e32 v110, 0x3beb, v108
	v_add_f16_e32 v111, v10, v111
	v_add_f16_e32 v112, v102, v112
	v_fmac_f16_e32 v70, 0xb93d, v72
	v_add_f16_e32 v104, v113, v104
	v_fma_f16 v113, v16, 0xb08e, -v109
	v_lshrrev_b32_e32 v116, 16, v17
	v_add_f16_e32 v19, v107, v19
	v_fmamk_f16 v107, v115, 0xb08e, v110
	v_add_f16_e32 v70, v10, v70
	v_add_f16_e32 v111, v113, v111
	v_mul_f16_e32 v113, 0xbbeb, v116
	v_add_f16_e32 v74, v102, v74
	v_add_f16_e32 v107, v107, v112
	v_fmac_f16_e32 v109, 0xb08e, v16
	v_fma_f16 v110, v115, 0xb08e, -v110
	v_pk_mul_f16 v112, 0xb08ebbad, v114
	v_fma_f16 v115, v114, 0xb08e, -v113
	v_fmac_f16_e32 v113, 0xb08e, v114
	v_add_f16_e32 v70, v109, v70
	v_add_f16_e32 v74, v110, v74
	v_pk_fma_f16 v109, 0x3482bbeb, v17, v112 op_sel:[0,0,1] op_sel_hi:[1,1,0] neg_lo:[0,1,0] neg_hi:[0,1,0]
	v_pk_fma_f16 v110, 0x3482bbeb, v17, v112 op_sel:[0,0,1] op_sel_hi:[1,1,0]
	v_add_f16_e32 v66, v115, v66
	v_add_f16_e32 v99, v113, v99
	v_pk_add_f16 v112, v15, v12
	v_pk_add_f16 v113, v12, v15 neg_lo:[0,1] neg_hi:[0,1]
	v_bfi_b32 v12, 0xffff, v110, v109
	v_lshrrev_b32_e32 v15, 16, v114
	v_mul_f16_e32 v115, 0x3482, v17
	v_pk_add_f16 v117, v14, v13
	v_pk_add_f16 v118, v13, v14 neg_lo:[0,1] neg_hi:[0,1]
	v_mul_f16_e32 v13, 0x3b47, v116
	v_pk_add_f16 v12, v12, v101
	v_fmamk_f16 v14, v15, 0xbbad, v115
	v_alignbit_b32 v101, s0, v110, 16
	v_mul_f16_e32 v110, 0x3b47, v17
	v_fma_f16 v119, v114, 0x36a6, -v13
	v_fma_f16 v115, v15, 0xbbad, -v115
	v_add_f16_e32 v14, v14, v103
	v_pk_add_f16 v73, v101, v73
	v_fmamk_f16 v101, v15, 0x36a6, v110
	v_add_f16_e32 v103, v119, v106
	v_mul_f16_e32 v106, 0xb853, v116
	v_fmac_f16_e32 v13, 0x36a6, v114
	v_add_f16_e32 v100, v115, v100
	v_add_f16_e32 v101, v101, v105
	v_fma_f16 v105, v15, 0x36a6, -v110
	v_mul_f16_e32 v110, 0xb853, v17
	v_fma_f16 v115, v114, 0x3abb, -v106
	v_add_f16_e32 v13, v13, v104
	v_lshrrev_b32_e32 v104, 16, v113
	v_add_f16_e32 v19, v105, v19
	v_fmamk_f16 v105, v15, 0x3abb, v110
	v_add_f16_e32 v111, v115, v111
	v_fmac_f16_e32 v106, 0x3abb, v114
	v_mul_f16_e32 v115, 0xba0c, v104
	v_pk_mul_f16 v116, 0xb93db08e, v112
	v_add_f16_e32 v105, v105, v107
	v_fma_f16 v15, v15, 0x3abb, -v110
	v_add_f16_e32 v70, v106, v70
	v_fma_f16 v106, v112, 0xb93d, -v115
	v_pk_fma_f16 v107, 0x3bebba0c, v113, v116 op_sel:[0,0,1] op_sel_hi:[1,1,0] neg_lo:[0,1,0] neg_hi:[0,1,0]
	v_pk_fma_f16 v110, 0x3bebba0c, v113, v116 op_sel:[0,0,1] op_sel_hi:[1,1,0]
	v_fmac_f16_e32 v115, 0xb93d, v112
	v_lshrrev_b32_e32 v116, 16, v112
	v_mul_f16_e32 v119, 0x3beb, v113
	v_add_f16_e32 v15, v15, v74
	v_add_f16_e32 v66, v106, v66
	v_bfi_b32 v74, 0xffff, v110, v107
	v_add_f16_e32 v99, v115, v99
	v_fmamk_f16 v106, v116, 0xb08e, v119
	v_fma_f16 v115, v116, 0xb08e, -v119
	v_mul_f16_e32 v119, 0xb853, v104
	v_mul_f16_e32 v120, 0xb853, v113
	v_pk_add_f16 v12, v74, v12
	v_add_f16_e32 v14, v106, v14
	v_add_f16_e32 v74, v115, v100
	v_fma_f16 v100, v112, 0x3abb, -v119
	v_fmamk_f16 v106, v116, 0x3abb, v120
	v_mul_f16_e32 v104, 0xb482, v104
	v_fmac_f16_e32 v119, 0x3abb, v112
	v_mul_f16_e32 v115, 0xb482, v113
	v_add_f16_e32 v100, v100, v103
	v_add_f16_e32 v101, v106, v101
	v_fma_f16 v103, v112, 0xbbad, -v104
	v_add_f16_e32 v13, v119, v13
	v_fmamk_f16 v106, v116, 0xbbad, v115
	v_fmac_f16_e32 v104, 0xbbad, v112
	v_lshrrev_b32_e32 v119, 16, v118
	v_add_f16_e32 v69, v102, v69
	v_add_f16_e32 v103, v103, v111
	;; [unrolled: 1-line block ×4, first 2 shown]
	v_mul_f16_e32 v104, 0xb482, v119
	v_pk_mul_f16 v105, 0xbbad3abb, v117
	v_add_f16_e32 v18, v18, v69
	v_fma_f16 v106, v116, 0xbbad, -v115
	v_pk_mul_f16 v72, 0xbbad, v72 op_sel_hi:[0,1]
	v_fma_f16 v111, v117, 0xbbad, -v104
	v_pk_fma_f16 v115, 0x3853b482, v118, v105 op_sel:[0,0,1] op_sel_hi:[1,1,0] neg_lo:[0,1,0] neg_hi:[0,1,0]
	v_add_f16_e32 v18, v109, v18
	v_pk_fma_f16 v109, 0x3853b482, v118, v105 op_sel:[0,0,1] op_sel_hi:[1,1,0]
	v_fmac_f16_e32 v104, 0xbbad, v117
	v_add_f16_e32 v106, v106, v15
	v_fma_f16 v69, v116, 0x3abb, -v120
	v_add_f16_e32 v15, v107, v18
	v_bfi_b32 v18, 0xffff, v109, v115
	v_add_f16_e32 v99, v104, v99
	v_lshrrev_b32_e32 v104, 16, v117
	v_mul_f16_e32 v107, 0x3853, v118
	v_add_f16_e32 v109, v115, v15
	v_pk_add_f16 v18, v18, v12
	v_mul_f16_e32 v15, 0xba0c, v119
	v_add_f16_e32 v66, v111, v66
	v_fmamk_f16 v12, v104, 0x3abb, v107
	v_fma_f16 v107, v104, 0x3abb, -v107
	v_mul_f16_e32 v111, 0xb93d, v104
	v_fma_f16 v115, v117, 0xb93d, -v15
	v_fmac_f16_e32 v15, 0xb93d, v117
	v_add_f16_e32 v120, v12, v14
	v_add_f16_e32 v74, v107, v74
	v_pk_fma_f16 v107, 0xb482, v71, v72 op_sel:[0,0,1] op_sel_hi:[0,1,0] neg_lo:[0,1,0] neg_hi:[0,1,0]
	v_pk_fma_f16 v12, 0xbb47b853, v23, v53 op_sel:[0,0,1] op_sel_hi:[1,1,0] neg_lo:[0,1,0] neg_hi:[0,1,0]
	v_pk_fma_f16 v71, 0xb482, v71, v72 op_sel:[0,0,1] op_sel_hi:[0,1,0]
	v_add_f16_e32 v72, v15, v13
	v_pk_fma_f16 v13, 0xba0cbb47, v24, v55 op_sel:[0,0,1] op_sel_hi:[1,1,0] neg_lo:[0,1,0] neg_hi:[0,1,0]
	v_alignbit_b32 v14, s0, v107, 16
	v_add_f16_e32 v15, v12, v35
	v_fmamk_f16 v116, v118, 0xba0c, v111
	v_mul_f16_e32 v53, 0x3b47, v119
	v_mul_f16_e32 v55, 0x3b47, v118
	v_pk_add_f16 v119, v10, v14
	v_pk_fma_f16 v14, 0x3482bbeb, v25, v65 op_sel:[0,0,1] op_sel_hi:[1,1,0] neg_lo:[0,1,0] neg_hi:[0,1,0]
	v_add_f16_e32 v15, v13, v15
	v_add_f16_e32 v115, v115, v100
	v_add_f16_e32 v101, v116, v101
	v_alignbit_b32 v116, s0, v10, 16
	v_fma_f16 v100, v117, 0x36a6, -v53
	v_pk_add_f16 v65, v10, v71 op_sel:[1,0] op_sel_hi:[0,1]
	v_pk_fma_f16 v10, 0x3bebba0c, v26, v67 op_sel:[0,0,1] op_sel_hi:[1,1,0] neg_lo:[0,1,0] neg_hi:[0,1,0]
	v_add_f16_e32 v67, v14, v15
	v_fmac_f16_e32 v53, 0x36a6, v117
	v_fmamk_f16 v71, v104, 0x36a6, v55
	v_pk_fma_f16 v15, 0x3853b482, v33, v68 op_sel:[0,0,1] op_sel_hi:[1,1,0] neg_lo:[0,1,0] neg_hi:[0,1,0]
	v_pk_mul_f16 v16, 0x3abb, v16 op_sel_hi:[0,1]
	v_add_f16_e32 v67, v10, v67
	v_add_f16_e32 v68, v53, v70
	v_mul_lo_u16 v70, v91, 11
	s_load_b64 s[2:3], s[0:1], 0x8
	v_add_co_u32 v53, s0, v91, 55
	v_add_f16_e32 v71, v71, v102
	v_fma_f16 v102, v104, 0x36a6, -v55
	s_wait_alu 0xf1ff
	v_add_co_ci_u32_e64 v55, null, 0, 0, s0
	v_add_f16_e32 v55, v15, v67
	v_and_b32_e32 v67, 0xffff, v70
	v_pk_fma_f16 v70, 0x3853, v108, v16 op_sel:[0,0,1] op_sel_hi:[0,1,0] neg_lo:[0,1,0] neg_hi:[0,1,0]
	v_pk_mul_f16 v104, 0xb93d, v114 op_sel_hi:[0,1]
	v_add_f16_e32 v103, v100, v103
	v_pk_fma_f16 v16, 0x3853, v108, v16 op_sel:[0,0,1] op_sel_hi:[0,1,0]
	v_lshlrev_b32_e32 v100, 2, v67
	v_add_f16_e32 v67, v102, v106
	v_alignbit_b32 v102, v120, v18, 16
	v_pack_b32_f16 v18, v66, v18
	v_pk_add_f16 v66, v116, v107
	v_alignbit_b32 v106, s0, v70, 16
	v_pk_fma_f16 v107, 0xba0c, v17, v104 op_sel:[0,0,1] op_sel_hi:[0,1,0] neg_lo:[0,1,0] neg_hi:[0,1,0]
	v_pk_mul_f16 v112, 0x36a6, v112 op_sel_hi:[0,1]
	v_pk_add_f16 v16, v16, v65
	v_pk_fma_f16 v17, 0xba0c, v17, v104 op_sel:[0,0,1] op_sel_hi:[0,1,0]
	v_pk_add_f16 v106, v106, v119
	v_alignbit_b32 v65, s0, v107, 16
	v_pk_fma_f16 v104, 0x3b47, v113, v112 op_sel:[0,0,1] op_sel_hi:[0,1,0] neg_lo:[0,1,0] neg_hi:[0,1,0]
	v_pk_mul_f16 v108, 0x3853b482, v118
	v_pk_add_f16 v16, v17, v16
	v_mul_f16_e32 v114, 0xba0c, v118
	v_pk_add_f16 v65, v65, v106
	v_alignbit_b32 v17, s0, v104, 16
	v_pk_add_f16 v66, v70, v66
	v_pk_fma_f16 v70, 0x3b47, v113, v112 op_sel:[0,0,1] op_sel_hi:[0,1,0]
	v_pack_b32_f16 v71, v103, v71
	v_pk_mul_f16 v103, 0xb08e, v117 op_sel_hi:[0,1]
	v_pk_add_f16 v17, v17, v65
	v_lshlrev_b32_e32 v65, 16, v73
	v_pk_add_f16 v66, v107, v66
	v_pk_add_f16 v16, v70, v16
	v_pk_fma_f16 v70, 0xbbeb, v118, v103 op_sel:[0,0,1] op_sel_hi:[0,1,0] neg_lo:[0,1,0] neg_hi:[0,1,0]
	v_pack_b32_f16 v69, v69, v105
	v_bfi_b32 v19, 0xffff, v19, v108
	v_pk_add_f16 v73, v111, v114 neg_lo:[0,1] neg_hi:[0,1]
	v_pk_add_f16 v65, v110, v65
	v_pk_fma_f16 v103, 0xbbeb, v118, v103 op_sel:[0,0,1] op_sel_hi:[0,1,0]
	v_pk_add_f16 v66, v104, v66
	v_alignbit_b32 v104, s0, v70, 16
	v_pk_add_f16 v19, v69, v19
	v_bfi_b32 v65, 0xffff, v73, v65
	v_pk_add_f16 v16, v103, v16
	v_pk_add_f16 v66, v70, v66
	v_pk_add_f16 v17, v104, v17
	v_pack_b32_f16 v67, v68, v67
	v_pk_add_f16 v19, v65, v19
	global_wb scope:SCOPE_SE
	s_wait_kmcnt 0x0
	s_barrier_signal -1
	s_barrier_wait -1
	global_inv scope:SCOPE_SE
	v_alignbit_b32 v66, v66, v16, 16
	v_pack_b32_f16 v16, v17, v16
	ds_store_2addr_b32 v100, v11, v67 offset1:7
	v_alignbit_b32 v11, v74, v19, 16
	v_pack_b32_f16 v17, v72, v19
	v_pack_b32_f16 v19, v99, v109
	v_mul_u32_u24_e32 v99, 11, v53
	v_pack_b32_f16 v65, v115, v101
	ds_store_2addr_b32 v100, v18, v102 offset0:1 offset1:2
	ds_store_2addr_b32 v100, v65, v71 offset0:3 offset1:4
	;; [unrolled: 1-line block ×4, first 2 shown]
	ds_store_b32 v100, v19 offset:40
	s_and_saveexec_b32 s0, vcc_lo
	s_cbranch_execz .LBB0_7
; %bb.6:
	v_mul_f16_e32 v11, 0xb93d, v39
	v_mul_f16_e32 v19, 0xb08e, v37
	;; [unrolled: 1-line block ×5, first 2 shown]
	v_fmamk_f16 v65, v23, 0x3a0c, v11
	v_fmamk_f16 v69, v24, 0xbbeb, v19
	v_mul_f16_e32 v103, 0x3beb, v51
	v_fmamk_f16 v102, v27, 0xb93d, v73
	v_mul_f16_e32 v104, 0x36a6, v50
	v_add_f16_e32 v65, v65, v35
	v_mul_f16_e32 v106, 0xb853, v56
	v_fmamk_f16 v105, v31, 0xb08e, v103
	v_add_f16_e32 v102, v102, v0
	v_mul_f16_e32 v109, 0xb482, v58
	v_add_f16_e32 v65, v69, v65
	v_fmamk_f16 v69, v25, 0x3853, v70
	v_fmac_f16_e32 v11, 0xba0c, v23
	v_add_f16_e32 v102, v105, v102
	v_fmamk_f16 v105, v32, 0x3abb, v106
	v_fma_f16 v73, v27, 0xb93d, -v73
	v_add_f16_e32 v65, v69, v65
	v_fmamk_f16 v69, v26, 0x3482, v74
	v_mul_f16_e32 v18, 0x36a6, v39
	v_add_f16_e32 v11, v11, v35
	v_fmac_f16_e32 v19, 0x3beb, v24
	v_add_f16_e32 v73, v73, v0
	v_add_f16_e32 v65, v69, v65
	v_fmamk_f16 v69, v33, 0xbb47, v104
	v_fma_f16 v103, v31, 0xb08e, -v103
	v_pk_add_f16 v1, v1, v0
	v_mul_f16_e32 v67, 0xb93d, v37
	v_add_f16_e32 v11, v19, v11
	v_add_f16_e32 v65, v69, v65
	;; [unrolled: 1-line block ×3, first 2 shown]
	v_fmamk_f16 v102, v34, 0xbbad, v109
	v_mul_f16_e32 v105, 0x3b47, v63
	v_fmac_f16_e32 v70, 0xb853, v25
	v_add_f16_e32 v19, v103, v73
	v_fma_f16 v73, v32, 0x3abb, -v106
	v_add_f16_e32 v69, v102, v69
	v_fmamk_f16 v102, v36, 0x36a6, v105
	v_add_f16_e32 v18, v52, v18
	v_pk_add_f16 v1, v8, v1
	v_mul_f16_e32 v71, 0xbbad, v38
	v_add_f16_e32 v11, v70, v11
	v_add_f16_e32 v69, v102, v69
	v_mul_f16_e32 v102, 0xbbeb, v23
	v_fmac_f16_e32 v74, 0xb482, v26
	v_add_f16_e32 v19, v73, v19
	v_fma_f16 v70, v34, 0xbbad, -v109
	v_mul_f16_e32 v103, 0x3482, v24
	v_fmamk_f16 v73, v39, 0xb08e, v102
	v_add_f16_e32 v18, v18, v35
	v_add_f16_e32 v57, v57, v67
	v_fma_f16 v39, v39, 0xb08e, -v102
	v_pk_add_f16 v1, v9, v1
	v_mul_f16_e32 v16, 0x3abb, v27
	v_mul_f16_e32 v101, 0xb08e, v44
	v_add_f16_e32 v11, v74, v11
	v_fmac_f16_e32 v104, 0x3b47, v33
	v_add_f16_e32 v19, v70, v19
	v_add_f16_e32 v70, v73, v35
	v_mul_f16_e32 v74, 0x3b47, v25
	v_add_f16_e32 v18, v57, v18
	v_add_f16_e32 v57, v59, v71
	;; [unrolled: 1-line block ×3, first 2 shown]
	v_fma_f16 v8, v37, 0xbbad, -v103
	v_pk_add_f16 v1, v6, v1
	v_mul_f16_e32 v66, 0x36a6, v31
	v_mul_f16_e32 v108, 0x3abb, v50
	v_add_f16_e32 v11, v104, v11
	v_mul_f16_e32 v104, 0xb853, v26
	v_add_f16_e32 v18, v57, v18
	v_add_f16_e32 v57, v61, v101
	v_sub_f16_e32 v16, v16, v40
	v_add_f16_e32 v8, v8, v35
	v_fma_f16 v9, v38, 0x36a6, -v74
	v_pk_add_f16 v1, v7, v1
	v_mul_f16_e32 v68, 0xb08e, v32
	v_mul_f16_e32 v59, 0xba0c, v33
	v_add_f16_e32 v18, v57, v18
	v_add_f16_e32 v40, v64, v108
	v_add_f16_e32 v16, v16, v0
	v_sub_f16_e32 v42, v66, v42
	v_bfi_b32 v12, 0xffff, v45, v12
	v_add_f16_e32 v8, v9, v8
	v_fma_f16 v9, v44, 0x3abb, -v104
	v_pk_add_f16 v1, v4, v1
	v_mul_f16_e32 v72, 0xb93d, v34
	v_add_f16_e32 v18, v40, v18
	v_bfi_b32 v13, 0xffff, v46, v13
	v_add_f16_e32 v16, v42, v16
	v_sub_f16_e32 v40, v68, v43
	v_add_f16_e32 v7, v9, v8
	v_fma_f16 v8, v50, 0xb93d, -v59
	v_pk_add_f16 v9, v12, v0 op_sel:[0,1] op_sel_hi:[1,0]
	v_pk_mul_f16 v12, 0xbbad, v27 op_sel_hi:[0,1]
	v_pk_add_f16 v1, v5, v1
	v_mul_f16_e32 v107, 0xbbad, v36
	v_bfi_b32 v14, 0xffff, v47, v14
	v_add_f16_e32 v16, v40, v16
	v_sub_f16_e32 v40, v72, v41
	v_add_f16_e32 v5, v8, v7
	v_pk_add_f16 v7, v13, v9
	v_pk_fma_f16 v8, 0xb482, v23, v12 op_sel:[0,0,1] op_sel_hi:[0,1,0] neg_lo:[0,1,0] neg_hi:[0,1,0]
	v_pk_add_f16 v1, v2, v1
	v_pk_mul_f16 v2, 0x3abb, v31 op_sel_hi:[0,1]
	v_fmamk_f16 v73, v37, 0xbbad, v103
	v_fma_f16 v105, v36, 0x36a6, -v105
	v_mul_f16_e32 v48, 0xbbeb, v48
	v_bfi_b32 v10, 0xffff, v60, v10
	v_add_f16_e32 v16, v40, v16
	v_sub_f16_e32 v6, v107, v49
	v_pk_add_f16 v7, v14, v7
	s_wait_alu 0xfffe
	v_alignbit_b32 v13, s0, v8, 16
	v_pk_add_f16 v1, v3, v1
	v_pk_fma_f16 v3, 0x3853, v24, v2 op_sel:[0,0,1] op_sel_hi:[0,1,0] neg_lo:[0,1,0] neg_hi:[0,1,0]
	v_pk_mul_f16 v14, 0xb93d, v32 op_sel_hi:[0,1]
	v_add_f16_e32 v70, v73, v70
	v_fmamk_f16 v73, v38, 0x36a6, v74
	v_add_f16_e32 v19, v105, v19
	v_fma_f16 v105, v27, 0xb08e, -v48
	v_mul_f16_e32 v51, 0x3482, v51
	v_alignbit_b32 v17, s0, v0, 16
	v_fmac_f16_e32 v48, 0xb08e, v27
	v_add_f16_e32 v6, v6, v16
	v_pk_add_f16 v7, v10, v7
	v_pk_add_f16 v10, v13, v0
	v_pk_fma_f16 v12, 0xb482, v23, v12 op_sel:[0,0,1] op_sel_hi:[0,1,0]
	v_alignbit_b32 v13, s0, v3, 16
	v_pk_fma_f16 v16, 0xba0c, v25, v14 op_sel:[0,0,1] op_sel_hi:[0,1,0] neg_lo:[0,1,0] neg_hi:[0,1,0]
	v_add_f16_e32 v70, v73, v70
	v_fmamk_f16 v52, v44, 0x3abb, v104
	v_add_f16_e32 v73, v105, v0
	v_fma_f16 v105, v31, 0xbbad, -v51
	v_mul_f16_e32 v56, 0x3b47, v56
	v_add_f16_e32 v37, v48, v0
	v_pk_mul_f16 v23, 0x36a6, v34 op_sel_hi:[0,1]
	v_pk_add_f16 v8, v8, v17
	v_pk_add_f16 v0, v12, v0 op_sel:[0,1] op_sel_hi:[1,0]
	v_pk_fma_f16 v2, 0x3853, v24, v2 op_sel:[0,0,1] op_sel_hi:[0,1,0]
	v_pk_add_f16 v10, v13, v10
	v_alignbit_b32 v12, s0, v16, 16
	v_fmac_f16_e32 v51, 0xbbad, v31
	v_add_f16_e32 v52, v52, v70
	v_add_f16_e32 v67, v105, v73
	v_fma_f16 v70, v32, 0x36a6, -v56
	v_mul_f16_e32 v58, 0xb853, v58
	v_pk_fma_f16 v13, 0x3b47, v26, v23 op_sel:[0,0,1] op_sel_hi:[0,1,0] neg_lo:[0,1,0] neg_hi:[0,1,0]
	v_pk_add_f16 v3, v3, v8
	v_pk_add_f16 v0, v2, v0
	v_pk_fma_f16 v2, 0xba0c, v25, v14 op_sel:[0,0,1] op_sel_hi:[0,1,0]
	v_pk_add_f16 v8, v12, v10
	v_pk_mul_f16 v12, 0xb08e, v36 op_sel_hi:[0,1]
	v_add_f16_e32 v35, v51, v37
	v_fmac_f16_e32 v56, 0x36a6, v32
	v_add_f16_e32 v67, v70, v67
	v_fma_f16 v70, v34, 0x3abb, -v58
	v_mul_f16_e32 v63, 0xba0c, v63
	v_alignbit_b32 v10, s0, v13, 16
	v_pk_add_f16 v3, v16, v3
	v_pk_add_f16 v0, v2, v0
	v_pk_fma_f16 v2, 0x3b47, v26, v23 op_sel:[0,0,1] op_sel_hi:[0,1,0]
	v_pk_fma_f16 v14, 0xbbeb, v33, v12 op_sel:[0,0,1] op_sel_hi:[0,1,0] neg_lo:[0,1,0] neg_hi:[0,1,0]
	v_add_f16_e32 v35, v56, v35
	v_fmac_f16_e32 v58, 0x3abb, v34
	v_bfi_b32 v15, 0xffff, v62, v15
	v_fmamk_f16 v61, v50, 0xb93d, v59
	v_add_f16_e32 v67, v70, v67
	v_fma_f16 v70, v36, 0xb93d, -v63
	v_pk_add_f16 v8, v10, v8
	v_pk_add_f16 v3, v13, v3
	;; [unrolled: 1-line block ×3, first 2 shown]
	v_pk_fma_f16 v2, 0xbbeb, v33, v12 op_sel:[0,0,1] op_sel_hi:[0,1,0]
	v_alignbit_b32 v10, s0, v14, 16
	v_add_f16_e32 v4, v58, v35
	v_fmac_f16_e32 v63, 0xb93d, v36
	v_pk_add_f16 v7, v15, v7
	v_add_f16_e32 v52, v61, v52
	v_add_f16_e32 v57, v70, v67
	v_pk_add_f16 v3, v14, v3
	v_pk_add_f16 v0, v2, v0
	;; [unrolled: 1-line block ×3, first 2 shown]
	v_add_f16_e32 v4, v63, v4
	v_lshlrev_b32_e32 v9, 2, v99
	v_pk_add_f16 v1, v22, v1
	v_alignbit_b32 v12, v18, v7, 16
	v_pack_b32_f16 v6, v6, v7
	v_pack_b32_f16 v7, v19, v11
	;; [unrolled: 1-line block ×3, first 2 shown]
	v_alignbit_b32 v3, v3, v0, 16
	v_pack_b32_f16 v0, v2, v0
	v_pack_b32_f16 v2, v4, v5
	v_pack_b32_f16 v4, v69, v65
	v_perm_b32 v5, v55, v21, 0x5040100
	v_perm_b32 v10, v54, v20, 0x5040100
	ds_store_b32 v9, v1
	ds_store_2addr_b32 v9, v6, v12 offset0:1 offset1:2
	ds_store_2addr_b32 v9, v8, v7 offset0:3 offset1:4
	;; [unrolled: 1-line block ×5, first 2 shown]
.LBB0_7:
	s_wait_alu 0xfffe
	s_or_b32 exec_lo, exec_lo, s0
	v_add_nc_u32_e32 v0, 0x200, v75
	v_add_nc_u32_e32 v1, 0x600, v75
	;; [unrolled: 1-line block ×3, first 2 shown]
	global_wb scope:SCOPE_SE
	s_wait_dscnt 0x0
	s_barrier_signal -1
	s_barrier_wait -1
	global_inv scope:SCOPE_SE
	ds_load_2addr_b32 v[24:25], v75 offset1:55
	v_add_nc_u32_e32 v3, 0xc00, v75
	ds_load_2addr_b32 v[49:50], v0 offset0:103 offset1:158
	ds_load_2addr_b32 v[41:42], v1 offset0:78 offset1:133
	v_add_nc_u32_e32 v0, 0x400, v75
	v_add_nc_u32_e32 v1, 0x1000, v75
	ds_load_2addr_b32 v[47:48], v2 offset0:181 offset1:236
	ds_load_2addr_b32 v[45:46], v3 offset0:156 offset1:211
	;; [unrolled: 1-line block ×7, first 2 shown]
	v_cmp_gt_u16_e64 s0, 11, v91
                                        ; implicit-def: $vgpr51
                                        ; implicit-def: $vgpr69
                                        ; implicit-def: $vgpr70
                                        ; implicit-def: $vgpr68
                                        ; implicit-def: $vgpr71
	s_delay_alu instid0(VALU_DEP_1)
	s_and_saveexec_b32 s1, s0
	s_cbranch_execz .LBB0_9
; %bb.8:
	v_add_nc_u32_e32 v0, 0x340, v75
	v_add_nc_u32_e32 v1, 0xa80, v75
	ds_load_2addr_b32 v[20:21], v0 offset0:12 offset1:243
	ds_load_2addr_b32 v[51:52], v1 offset0:10 offset1:241
	ds_load_b32 v68, v75 offset:4576
	s_wait_dscnt 0x2
	v_lshrrev_b32_e32 v54, 16, v20
	v_lshrrev_b32_e32 v55, 16, v21
	s_wait_dscnt 0x1
	v_lshrrev_b32_e32 v69, 16, v51
	v_lshrrev_b32_e32 v70, 16, v52
	s_wait_dscnt 0x0
	v_lshrrev_b32_e32 v71, 16, v68
.LBB0_9:
	s_wait_alu 0xfffe
	s_or_b32 exec_lo, exec_lo, s1
	v_add_co_u32 v39, s1, 0xdc, v91
	v_and_b32_e32 v0, 0xff, v91
	v_and_b32_e32 v2, 0xff, v53
	s_wait_alu 0xf1ff
	v_add_co_ci_u32_e64 v40, null, 0, 0, s1
	v_and_b32_e32 v1, 0xffff, v39
	v_mul_lo_u16 v0, 0x75, v0
	v_mul_lo_u16 v2, 0x75, v2
	v_add_co_u32 v37, s1, 0x6e, v91
	s_delay_alu instid0(VALU_DEP_4) | instskip(NEXT) | instid1(VALU_DEP_4)
	v_mul_u32_u24_e32 v1, 0xba2f, v1
	v_lshrrev_b16 v0, 8, v0
	s_delay_alu instid0(VALU_DEP_4)
	v_lshrrev_b16 v2, 8, v2
	s_wait_alu 0xf1ff
	v_add_co_ci_u32_e64 v38, null, 0, 0, s1
	v_lshrrev_b32_e32 v1, 19, v1
	v_sub_nc_u16 v3, v91, v0
	v_sub_nc_u16 v4, v53, v2
	v_add_co_u32 v43, s1, 0xa5, v91
	s_delay_alu instid0(VALU_DEP_4) | instskip(NEXT) | instid1(VALU_DEP_4)
	v_mul_lo_u16 v1, v1, 11
	v_lshrrev_b16 v3, 1, v3
	v_and_b32_e32 v56, 0xff, v37
	s_wait_dscnt 0x8
	v_lshrrev_b32_e32 v134, 16, v49
	s_wait_dscnt 0x7
	v_lshrrev_b32_e32 v135, 16, v41
	v_sub_nc_u16 v57, v39, v1
	v_lshrrev_b16 v1, 1, v4
	v_and_b32_e32 v3, 0x7f, v3
	v_mul_lo_u16 v5, 0x75, v56
	s_wait_dscnt 0x6
	v_lshrrev_b32_e32 v136, 16, v47
	v_lshlrev_b16 v4, 2, v57
	v_and_b32_e32 v1, 0x7f, v1
	v_add_nc_u16 v0, v3, v0
	v_and_b32_e32 v3, 0xff, v43
	v_lshrrev_b16 v5, 8, v5
	v_and_b32_e32 v4, 0xffff, v4
	v_add_nc_u16 v1, v1, v2
	v_lshrrev_b16 v64, 3, v0
	s_wait_dscnt 0x5
	v_lshrrev_b32_e32 v131, 16, v45
	v_sub_nc_u16 v7, v37, v5
	v_lshlrev_b32_e32 v2, 2, v4
	v_mul_lo_u16 v4, 0x75, v3
	v_mul_lo_u16 v6, v64, 11
	v_lshrrev_b16 v60, 3, v1
	v_lshrrev_b16 v7, 1, v7
	global_load_b128 v[0:3], v2, s[2:3]
	v_lshrrev_b16 v4, 8, v4
	v_sub_nc_u16 v6, v91, v6
	v_mul_lo_u16 v8, v60, 11
	v_and_b32_e32 v7, 0x7f, v7
	v_lshrrev_b32_e32 v133, 16, v50
	v_sub_nc_u16 v9, v43, v4
	v_and_b32_e32 v65, 0xff, v6
	v_sub_nc_u16 v8, v53, v8
	v_add_nc_u16 v5, v7, v5
	v_lshrrev_b32_e32 v132, 16, v42
	v_lshrrev_b16 v6, 1, v9
	v_lshrrev_b32_e32 v130, 16, v48
	v_and_b32_e32 v61, 0xff, v8
	v_lshrrev_b16 v62, 3, v5
	v_lshlrev_b32_e32 v8, 4, v65
	v_and_b32_e32 v6, 0x7f, v6
	v_lshrrev_b32_e32 v113, 16, v46
	v_lshlrev_b32_e32 v7, 4, v61
	s_wait_dscnt 0x3
	v_lshrrev_b32_e32 v107, 16, v36
	global_load_b128 v[16:19], v8, s[2:3]
	v_add_nc_u16 v4, v6, v4
	v_lshrrev_b32_e32 v110, 16, v35
	global_load_b128 v[12:15], v7, s[2:3]
	s_wait_dscnt 0x2
	v_lshrrev_b32_e32 v111, 16, v33
	s_wait_dscnt 0x1
	v_lshrrev_b32_e32 v112, 16, v31
	v_lshrrev_b16 v59, 3, v4
	v_mul_lo_u16 v4, v62, 11
	s_wait_dscnt 0x0
	v_lshrrev_b32_e32 v106, 16, v26
	v_lshrrev_b32_e32 v74, 16, v34
	;; [unrolled: 1-line block ×3, first 2 shown]
	v_mul_lo_u16 v5, v59, 11
	v_sub_nc_u16 v4, v37, v4
	v_lshrrev_b32_e32 v67, 16, v24
	v_lshrrev_b32_e32 v66, 16, v25
	;; [unrolled: 1-line block ×3, first 2 shown]
	v_sub_nc_u16 v5, v43, v5
	v_and_b32_e32 v63, 0xff, v4
	v_lshrrev_b32_e32 v73, 16, v23
	v_lshrrev_b32_e32 v72, 16, v22
	v_and_b32_e32 v64, 0xffff, v64
	v_and_b32_e32 v58, 0xff, v5
	v_lshlrev_b32_e32 v4, 4, v63
	s_wait_alu 0xf1ff
	v_add_co_ci_u32_e64 v44, null, 0, 0, s1
	s_delay_alu instid0(VALU_DEP_3)
	v_lshlrev_b32_e32 v5, 4, v58
	s_clause 0x1
	global_load_b128 v[8:11], v4, s[2:3]
	global_load_b128 v[4:7], v5, s[2:3]
	global_wb scope:SCOPE_SE
	s_wait_loadcnt 0x0
	s_barrier_signal -1
	s_barrier_wait -1
	global_inv scope:SCOPE_SE
	v_lshrrev_b32_e32 v101, 16, v1
	v_lshrrev_b32_e32 v103, 16, v2
	;; [unrolled: 1-line block ×4, first 2 shown]
	s_delay_alu instid0(VALU_DEP_4) | instskip(NEXT) | instid1(VALU_DEP_4)
	v_mul_f16_e32 v105, v69, v101
	v_mul_f16_e32 v114, v70, v103
	s_delay_alu instid0(VALU_DEP_4)
	v_mul_f16_e32 v116, v55, v104
	v_mul_f16_e64 v139, v52, v103
	v_mul_f16_e32 v115, v71, v102
	v_mul_f16_e64 v141, v21, v104
	v_fma_f16 v140, v51, v1, -v105
	v_fma_f16 v52, v52, v2, -v114
	;; [unrolled: 1-line block ×3, first 2 shown]
	v_mul_f16_e64 v138, v51, v101
	v_fma_f16 v51, v68, v3, -v115
	v_fmac_f16_e64 v141, v55, v0
	v_add_f16_e64 v55, v140, v52
	v_mul_f16_e64 v137, v68, v102
	v_fmac_f16_e64 v138, v69, v1
	v_lshrrev_b32_e32 v129, 16, v16
	v_lshrrev_b32_e32 v127, 16, v17
	;; [unrolled: 1-line block ×8, first 2 shown]
	v_mul_f16_e64 v142, v134, v129
	v_mul_f16_e64 v145, v41, v127
	;; [unrolled: 1-line block ×16, first 2 shown]
	v_fma_f16 v49, v49, v16, -v142
	v_fmac_f16_e64 v145, v135, v17
	v_fma_f16 v105, -0.5, v55, v20
	v_fma_f16 v50, v50, v12, -v150
	v_fmac_f16_e64 v143, v134, v16
	v_lshrrev_b32_e32 v128, 16, v8
	v_lshrrev_b32_e32 v120, 16, v4
	;; [unrolled: 1-line block ×8, first 2 shown]
	v_mul_f16_e64 v135, v107, v120
	v_mul_f16_e64 v142, v36, v120
	v_fmac_f16_e64 v148, v136, v18
	v_fma_f16 v41, v41, v17, -v144
	v_fma_f16 v47, v47, v18, -v146
	v_fma_f16 v45, v45, v19, -v147
	v_fmac_f16_e64 v149, v131, v19
	v_fmac_f16_e64 v151, v133, v12
	v_fma_f16 v42, v42, v13, -v152
	v_fmac_f16_e64 v153, v132, v13
	v_fma_f16 v48, v48, v14, -v154
	;; [unrolled: 2-line block ×3, first 2 shown]
	v_fmac_f16_e64 v157, v113, v15
	v_mul_f16_e64 v55, v110, v128
	v_mul_f16_e64 v113, v35, v128
	;; [unrolled: 1-line block ×13, first 2 shown]
	v_fma_f16 v36, v36, v4, -v135
	v_fmac_f16_e64 v142, v107, v4
	v_mul_f16_e64 v154, v109, v114
	v_fma_f16 v35, v35, v8, -v55
	v_fmac_f16_e32 v113, v110, v8
	v_fmac_f16_e64 v131, v111, v9
	v_fmac_f16_e64 v133, v112, v10
	v_fma_f16 v33, v33, v9, -v130
	v_fma_f16 v31, v31, v10, -v132
	;; [unrolled: 1-line block ×3, first 2 shown]
	v_fmac_f16_e64 v136, v106, v11
	v_fma_f16 v34, v34, v5, -v144
	v_fmac_f16_e64 v146, v74, v5
	v_fma_f16 v32, v32, v6, -v150
	v_fmac_f16_e64 v152, v108, v6
	v_fmac_f16_e64 v156, v109, v7
	v_sub_f16_e32 v55, v49, v41
	v_sub_f16_e32 v74, v45, v47
	;; [unrolled: 1-line block ×4, first 2 shown]
	v_add_f16_e64 v108, v67, v143
	v_add_f16_e64 v109, v145, v148
	v_sub_f16_e64 v110, v143, v145
	v_sub_f16_e64 v111, v149, v148
	v_add_f16_e64 v112, v143, v149
	v_sub_f16_e64 v130, v145, v143
	v_sub_f16_e64 v132, v148, v149
	;; [unrolled: 3-line block ×3, first 2 shown]
	v_sub_f16_e64 v158, v42, v50
	v_sub_f16_e64 v159, v48, v46
	;; [unrolled: 1-line block ×4, first 2 shown]
	v_add_f16_e64 v164, v66, v151
	v_sub_f16_e64 v165, v153, v151
	v_sub_f16_e64 v166, v155, v157
	v_add_f16_e64 v167, v24, v49
	v_add_f16_e64 v168, v41, v47
	;; [unrolled: 1-line block ×5, first 2 shown]
	v_fmac_f16_e64 v137, v71, v3
	v_fma_f16 v27, v27, v7, -v154
	v_add_f16_e64 v150, v50, v46
	v_add_f16_e64 v154, v25, v50
	;; [unrolled: 1-line block ×4, first 2 shown]
	v_sub_f16_e64 v169, v41, v47
	v_sub_f16_e64 v170, v145, v148
	;; [unrolled: 1-line block ×3, first 2 shown]
	v_add_f16_e32 v55, v55, v74
	v_add_f16_e32 v74, v106, v107
	;; [unrolled: 1-line block ×3, first 2 shown]
	v_fma_f16 v111, -0.5, v109, v67
	v_fmac_f16_e32 v67, -0.5, v112
	v_add_f16_e64 v107, v130, v132
	v_add_f16_e64 v109, v135, v144
	v_fma_f16 v112, -0.5, v134, v25
	v_add_f16_e64 v110, v158, v159
	v_add_f16_e64 v130, v160, v161
	;; [unrolled: 1-line block ×6, first 2 shown]
	v_sub_f16_e64 v144, v35, v33
	v_sub_f16_e64 v145, v26, v31
	v_add_f16_e64 v159, v131, v133
	v_add_f16_e64 v160, v113, v136
	;; [unrolled: 1-line block ×3, first 2 shown]
	v_sub_f16_e64 v164, v36, v34
	v_add_f16_e64 v166, v34, v32
	v_sub_f16_e64 v175, v34, v36
	v_sub_f16_e64 v177, v142, v146
	v_add_f16_e64 v179, v146, v152
	v_sub_f16_e64 v182, v146, v142
	v_fma_f16 v168, -0.5, v168, v24
	v_fma_f16 v24, -0.5, v173, v24
	v_add_f16_e64 v173, v22, v35
	v_sub_f16_e64 v187, v34, v32
	v_sub_f16_e64 v188, v146, v152
	v_add_f16_e64 v34, v174, v34
	v_add_f16_e64 v146, v181, v146
	v_fmac_f16_e64 v139, v70, v2
	v_sub_f16_e64 v68, v141, v137
	v_sub_f16_e64 v171, v42, v48
	;; [unrolled: 1-line block ×3, first 2 shown]
	v_fmac_f16_e64 v25, -0.5, v150
	v_fma_f16 v132, -0.5, v162, v66
	v_fmac_f16_e64 v66, -0.5, v163
	v_add_f16_e64 v42, v154, v42
	v_sub_f16_e64 v150, v33, v35
	v_sub_f16_e64 v153, v31, v26
	;; [unrolled: 1-line block ×7, first 2 shown]
	v_add_f16_e64 v180, v142, v156
	v_add_f16_e64 v184, v33, v31
	v_sub_f16_e64 v185, v33, v31
	v_sub_f16_e64 v186, v131, v133
	v_add_f16_e32 v41, v41, v47
	v_add_f16_e64 v47, v108, v148
	v_add_f16_e64 v108, v144, v145
	v_fma_f16 v145, -0.5, v159, v72
	v_fmac_f16_e64 v72, -0.5, v160
	v_fma_f16 v160, 0x3b9c, v143, v168
	v_fmac_f16_e64 v168, 0xbb9c, v143
	v_add_f16_e64 v33, v173, v33
	v_add_f16_e64 v131, v161, v131
	v_add_f16_e32 v32, v34, v32
	v_add_f16_e64 v34, v146, v152
	v_sub_f16_e64 v69, v21, v140
	v_sub_f16_e32 v70, v51, v52
	v_sub_f16_e64 v71, v138, v139
	v_fma_f16 v147, 0x3b9c, v68, v105
	v_sub_f16_e32 v49, v49, v45
	v_sub_f16_e32 v50, v50, v46
	v_sub_f16_e64 v163, v133, v136
	v_add_f16_e64 v167, v36, v27
	v_sub_f16_e32 v36, v36, v27
	v_add_f16_e32 v42, v42, v48
	v_add_f16_e64 v48, v135, v155
	v_add_f16_e64 v135, v150, v153
	;; [unrolled: 1-line block ×5, first 2 shown]
	v_fma_f16 v159, -0.5, v179, v73
	v_fmac_f16_e64 v73, -0.5, v180
	v_fma_f16 v164, 0x3b9c, v169, v67
	v_fmac_f16_e64 v67, 0xbb9c, v169
	v_fma_f16 v175, 0x3b9c, v171, v66
	v_fmac_f16_e64 v66, 0xbb9c, v171
	v_fmac_f16_e64 v160, 0x38b4, v170
	;; [unrolled: 1-line block ×3, first 2 shown]
	v_add_f16_e32 v31, v33, v31
	v_add_f16_e64 v33, v131, v133
	v_add_f16_e32 v27, v32, v27
	v_add_f16_e64 v32, v34, v156
	v_fmac_f16_e32 v105, 0xbb9c, v68
	v_add_f16_e32 v34, v21, v51
	v_sub_f16_e64 v183, v152, v156
	v_add_f16_e64 v189, v35, v26
	v_sub_f16_e32 v35, v35, v26
	v_add_f16_e64 v148, v162, v163
	v_fma_f16 v153, -0.5, v166, v23
	v_fmac_f16_e64 v23, -0.5, v167
	v_fma_f16 v162, 0xbb9c, v170, v24
	v_fmac_f16_e64 v24, 0x3b9c, v170
	v_fma_f16 v167, 0xbb9c, v50, v132
	v_fmac_f16_e64 v132, 0x3b9c, v50
	v_fmac_f16_e64 v164, 0xb8b4, v49
	v_fmac_f16_e32 v67, 0x38b4, v49
	v_fmac_f16_e64 v175, 0xb8b4, v50
	v_fmac_f16_e32 v66, 0x38b4, v50
	v_fma_f16 v50, 0x3b9c, v185, v72
	v_fmac_f16_e64 v72, 0xbb9c, v185
	v_fma_f16 v146, 0x3b9c, v187, v73
	v_fmac_f16_e64 v73, 0xbb9c, v187
	v_fmac_f16_e64 v160, 0x34f2, v55
	;; [unrolled: 1-line block ×3, first 2 shown]
	v_add_f16_e32 v26, v31, v26
	v_add_f16_e64 v31, v33, v136
	v_add_f16_e32 v33, v69, v70
	v_fmac_f16_e64 v147, 0x38b4, v71
	v_fmac_f16_e32 v105, 0xb8b4, v71
	v_fma_f16 v34, -0.5, v34, v20
	v_add_f16_e64 v55, v138, v139
	v_sub_f16_e64 v113, v113, v136
	v_add_f16_e64 v158, v182, v183
	v_fma_f16 v163, 0xbb9c, v49, v111
	v_fmac_f16_e32 v111, 0x3b9c, v49
	v_fma_f16 v161, -0.5, v184, v22
	v_fmac_f16_e64 v162, 0x38b4, v143
	v_fmac_f16_e64 v24, 0xb8b4, v143
	v_fma_f16 v49, 0xbb9c, v35, v145
	v_fmac_f16_e64 v145, 0x3b9c, v35
	v_fma_f16 v143, 0xbb9c, v36, v159
	v_fmac_f16_e64 v159, 0x3b9c, v36
	v_fmac_f16_e64 v164, 0x34f2, v107
	v_fmac_f16_e32 v67, 0x34f2, v107
	v_fmac_f16_e32 v50, 0xb8b4, v35
	v_fmac_f16_e32 v72, 0x38b4, v35
	v_fmac_f16_e64 v146, 0xb8b4, v36
	v_fmac_f16_e32 v73, 0x38b4, v36
	v_fmac_f16_e64 v147, 0x34f2, v33
	v_sub_f16_e64 v35, v140, v21
	v_sub_f16_e32 v36, v52, v51
	v_fmac_f16_e32 v105, 0x34f2, v33
	v_fmamk_f16 v33, v71, 0xbb9c, v34
	v_fmac_f16_e32 v34, 0x3b9c, v71
	v_fma_f16 v107, -0.5, v55, v54
	v_sub_f16_e32 v55, v21, v51
	v_sub_f16_e64 v151, v151, v157
	v_add_f16_e32 v41, v41, v45
	v_add_f16_e64 v45, v47, v149
	v_fma_f16 v47, 0x3b9c, v113, v161
	v_fmac_f16_e64 v161, 0xbb9c, v113
	v_fmac_f16_e64 v146, 0x34f2, v158
	;; [unrolled: 1-line block ×3, first 2 shown]
	v_add_f16_e32 v35, v35, v36
	v_sub_f16_e64 v36, v141, v138
	v_sub_f16_e64 v69, v137, v139
	v_fmac_f16_e32 v33, 0x38b4, v68
	v_fmac_f16_e32 v34, 0xb8b4, v68
	v_fma_f16 v158, 0xbb9c, v55, v107
	v_sub_f16_e64 v68, v140, v52
	v_fmac_f16_e32 v107, 0x3b9c, v55
	v_fma_f16 v165, 0x3b9c, v151, v112
	v_fmac_f16_e64 v112, 0xbb9c, v151
	v_fmac_f16_e64 v47, 0x38b4, v186
	;; [unrolled: 1-line block ×3, first 2 shown]
	v_add_f16_e64 v70, v141, v137
	v_add_f16_e32 v36, v36, v69
	v_fmac_f16_e64 v158, 0xb8b4, v68
	v_fmac_f16_e32 v107, 0x38b4, v68
	v_fma_f16 v166, 0xbb9c, v172, v25
	v_fmac_f16_e64 v25, 0x3b9c, v172
	v_fmac_f16_e64 v163, 0xb8b4, v169
	v_fmac_f16_e64 v111, 0x38b4, v169
	v_fmac_f16_e64 v165, 0x38b4, v172
	v_fmac_f16_e64 v112, 0xb8b4, v172
	v_fmac_f16_e32 v47, 0x34f2, v108
	v_fmac_f16_e64 v161, 0x34f2, v108
	v_fma_f16 v108, -0.5, v70, v54
	v_fmac_f16_e64 v158, 0x34f2, v36
	v_fmac_f16_e32 v107, 0x34f2, v36
	v_and_b32_e32 v36, 0xffff, v60
	v_add_f16_e32 v42, v42, v46
	v_fmac_f16_e64 v166, 0x38b4, v151
	v_fmac_f16_e64 v25, 0xb8b4, v151
	v_add_f16_e64 v46, v48, v157
	v_fmac_f16_e64 v167, 0xb8b4, v171
	v_fmac_f16_e64 v163, 0x34f2, v106
	v_fmac_f16_e32 v111, 0x34f2, v106
	v_fmac_f16_e64 v165, 0x34f2, v109
	v_fmac_f16_e32 v112, 0x34f2, v109
	v_fmamk_f16 v109, v68, 0x3b9c, v108
	v_fmac_f16_e32 v108, 0xbb9c, v68
	v_fmac_f16_e32 v33, 0x34f2, v35
	;; [unrolled: 1-line block ×3, first 2 shown]
	v_mul_u32_u24_e32 v35, 55, v64
	v_mul_u32_u24_e32 v36, 55, v36
	v_fmac_f16_e64 v162, 0x34f2, v74
	v_fmac_f16_e32 v24, 0x34f2, v74
	v_fma_f16 v22, -0.5, v189, v22
	v_fmac_f16_e64 v132, 0x38b4, v171
	v_fmac_f16_e64 v166, 0x34f2, v110
	v_fmac_f16_e32 v25, 0x34f2, v110
	v_fmac_f16_e64 v167, 0x34f2, v130
	v_fmac_f16_e32 v109, 0xb8b4, v55
	v_fmac_f16_e32 v108, 0x38b4, v55
	v_add_lshl_u32 v110, v35, v65, 2
	v_pack_b32_f16 v35, v41, v45
	v_pack_b32_f16 v41, v160, v163
	;; [unrolled: 1-line block ×3, first 2 shown]
	v_add_lshl_u32 v111, v36, v61, 2
	v_pack_b32_f16 v36, v42, v46
	v_and_b32_e32 v42, 0xffff, v62
	v_sub_f16_e64 v142, v142, v156
	v_pack_b32_f16 v45, v162, v164
	v_pack_b32_f16 v24, v24, v67
	v_fma_f16 v48, 0xbb9c, v186, v22
	v_fmac_f16_e64 v22, 0x3b9c, v186
	v_fmac_f16_e64 v132, 0x34f2, v130
	;; [unrolled: 1-line block ×4, first 2 shown]
	v_pack_b32_f16 v46, v165, v167
	ds_store_2addr_b32 v110, v35, v41 offset1:11
	ds_store_2addr_b32 v110, v45, v24 offset0:22 offset1:33
	ds_store_b32 v110, v55 offset:176
	v_mul_u32_u24_e32 v24, 55, v42
	v_sub_f16_e64 v178, v156, v152
	v_fma_f16 v131, 0x3b9c, v142, v153
	v_fmac_f16_e64 v49, 0xb8b4, v185
	v_fma_f16 v133, 0xbb9c, v188, v23
	v_fmac_f16_e64 v23, 0x3b9c, v188
	v_fmac_f16_e32 v48, 0x38b4, v113
	v_fmac_f16_e32 v22, 0xb8b4, v113
	v_fmac_f16_e64 v153, 0xbb9c, v142
	v_fmac_f16_e64 v145, 0x38b4, v185
	v_sub_f16_e64 v69, v138, v141
	v_sub_f16_e64 v70, v139, v137
	ds_store_2addr_b32 v111, v36, v46 offset1:11
	v_pack_b32_f16 v35, v166, v175
	v_pack_b32_f16 v25, v25, v66
	;; [unrolled: 1-line block ×3, first 2 shown]
	v_add_lshl_u32 v112, v24, v63, 2
	v_pack_b32_f16 v24, v26, v31
	v_and_b32_e32 v26, 0xffff, v59
	v_add_f16_e64 v155, v177, v178
	v_fmac_f16_e64 v131, 0x38b4, v188
	v_fmac_f16_e64 v143, 0xb8b4, v187
	v_fmac_f16_e64 v49, 0x34f2, v144
	v_fmac_f16_e64 v133, 0x38b4, v142
	v_fmac_f16_e64 v23, 0xb8b4, v142
	v_fmac_f16_e64 v48, 0x34f2, v135
	v_fmac_f16_e64 v22, 0x34f2, v135
	v_fmac_f16_e64 v50, 0x34f2, v148
	v_fmac_f16_e64 v72, 0x34f2, v148
	v_fmac_f16_e64 v153, 0xb8b4, v188
	v_fmac_f16_e64 v159, 0x38b4, v187
	v_fmac_f16_e64 v145, 0x34f2, v144
	v_add_f16_e32 v68, v69, v70
	ds_store_2addr_b32 v111, v35, v25 offset0:22 offset1:33
	v_mul_u32_u24_e32 v25, 55, v26
	v_fmac_f16_e64 v131, 0x34f2, v150
	v_fmac_f16_e64 v143, 0x34f2, v155
	v_pack_b32_f16 v31, v47, v49
	v_fmac_f16_e64 v133, 0x34f2, v154
	v_fmac_f16_e64 v23, 0x34f2, v154
	v_pack_b32_f16 v41, v48, v50
	v_pack_b32_f16 v22, v22, v72
	v_fmac_f16_e64 v153, 0x34f2, v150
	v_fmac_f16_e64 v159, 0x34f2, v155
	v_fmac_f16_e32 v109, 0x34f2, v68
	v_fmac_f16_e32 v108, 0x34f2, v68
	ds_store_b32 v111, v36 offset:176
	ds_store_2addr_b32 v112, v24, v31 offset1:11
	ds_store_2addr_b32 v112, v41, v22 offset0:22 offset1:33
	v_pack_b32_f16 v22, v161, v145
	v_add_lshl_u32 v113, v25, v58, 2
	v_and_b32_e32 v106, 0xffff, v57
	v_pack_b32_f16 v24, v27, v32
	v_pack_b32_f16 v25, v131, v143
	;; [unrolled: 1-line block ×5, first 2 shown]
	ds_store_b32 v112, v22 offset:176
	ds_store_2addr_b32 v113, v24, v25 offset1:11
	ds_store_2addr_b32 v113, v26, v23 offset0:22 offset1:33
	ds_store_b32 v113, v27 offset:176
	s_and_saveexec_b32 s1, s0
	s_cbranch_execz .LBB0_11
; %bb.10:
	v_add_f16_e64 v22, v54, v141
	v_add_f16_e32 v20, v20, v21
	v_perm_b32 v24, v109, v33, 0x5040100
	v_perm_b32 v25, v108, v34, 0x5040100
	;; [unrolled: 1-line block ×3, first 2 shown]
	v_add_f16_e64 v21, v22, v138
	v_add_f16_e64 v20, v20, v140
	v_lshlrev_b32_e32 v22, 2, v106
	s_delay_alu instid0(VALU_DEP_3) | instskip(NEXT) | instid1(VALU_DEP_3)
	v_add_f16_e64 v21, v21, v139
	v_add_f16_e32 v20, v20, v52
	s_delay_alu instid0(VALU_DEP_3) | instskip(NEXT) | instid1(VALU_DEP_3)
	v_add_nc_u32_e32 v26, 0x1000, v22
	v_add_f16_e64 v21, v21, v137
	s_delay_alu instid0(VALU_DEP_3) | instskip(NEXT) | instid1(VALU_DEP_1)
	v_add_f16_e32 v20, v20, v51
	v_pack_b32_f16 v20, v20, v21
	v_perm_b32 v21, v107, v105, 0x5040100
	ds_store_2addr_b32 v26, v24, v25 offset0:98 offset1:109
	ds_store_2addr_b32 v26, v20, v23 offset0:76 offset1:87
	ds_store_b32 v22, v21 offset:4576
.LBB0_11:
	s_wait_alu 0xfffe
	s_or_b32 exec_lo, exec_lo, s1
	v_mad_co_u64_u32 v[24:25], null, v91, 24, s[2:3]
	global_wb scope:SCOPE_SE
	s_wait_dscnt 0x0
	s_barrier_signal -1
	s_barrier_wait -1
	global_inv scope:SCOPE_SE
	v_add_nc_u32_e32 v65, 0x400, v75
	v_add_nc_u32_e32 v57, 0x800, v75
	s_clause 0x1
	global_load_b128 v[20:23], v[24:25], off offset:176
	global_load_b64 v[31:32], v[24:25], off offset:192
	v_mul_lo_u16 v24, 0x95, v56
	v_add_nc_u32_e32 v59, 0xc00, v75
	v_add_nc_u32_e32 v58, 0xe00, v75
	;; [unrolled: 1-line block ×3, first 2 shown]
	v_lshlrev_b64_e32 v[43:44], 3, v[43:44]
	v_lshrrev_b16 v24, 13, v24
	v_lshlrev_b64_e32 v[39:40], 3, v[39:40]
	v_lshlrev_b32_e32 v49, 3, v91
	s_delay_alu instid0(VALU_DEP_3) | instskip(NEXT) | instid1(VALU_DEP_1)
	v_mul_lo_u16 v24, v24, 55
	v_sub_nc_u16 v24, v37, v24
	s_delay_alu instid0(VALU_DEP_1) | instskip(NEXT) | instid1(VALU_DEP_1)
	v_and_b32_e32 v45, 0xff, v24
	v_mad_co_u64_u32 v[35:36], null, v45, 24, s[2:3]
	s_clause 0x1
	global_load_b128 v[24:27], v[35:36], off offset:176
	global_load_b64 v[35:36], v[35:36], off offset:192
	ds_load_2addr_b32 v[47:48], v75 offset1:55
	ds_load_2addr_b32 v[41:42], v75 offset0:110 offset1:165
	ds_load_b32 v52, v75 offset:4400
	ds_load_2addr_b32 v[50:51], v65 offset0:74 offset1:129
	ds_load_2addr_b32 v[54:55], v65 offset0:184 offset1:239
	;; [unrolled: 1-line block ×8, first 2 shown]
	global_wb scope:SCOPE_SE
	s_wait_loadcnt_dscnt 0x0
	s_barrier_signal -1
	s_barrier_wait -1
	global_inv scope:SCOPE_SE
	v_lshrrev_b32_e32 v74, 16, v52
	v_lshrrev_b32_e32 v130, 16, v50
	;; [unrolled: 1-line block ×27, first 2 shown]
	v_mul_f16_e64 v155, v64, v136
	v_mul_f16_e64 v156, v42, v136
	;; [unrolled: 1-line block ×24, first 2 shown]
	v_fma_f16 v42, v42, v20, -v155
	v_fmac_f16_e64 v156, v64, v20
	v_fma_f16 v50, v50, v21, -v157
	v_fmac_f16_e64 v159, v130, v21
	;; [unrolled: 2-line block ×8, first 2 shown]
	v_fma_f16 v70, v72, v22, -v172
	v_fma_f16 v72, v142, v31, -v176
	v_fmac_f16_e64 v177, v148, v31
	v_fma_f16 v69, v69, v32, -v178
	v_fmac_f16_e64 v179, v149, v32
	v_fmac_f16_e64 v173, v145, v22
	v_fma_f16 v61, v61, v23, -v174
	v_fmac_f16_e64 v175, v146, v23
	v_add_f16_e64 v130, v42, v64
	v_add_f16_e64 v137, v156, v167
	v_sub_f16_e32 v42, v42, v64
	v_sub_f16_e64 v64, v156, v167
	v_add_f16_e64 v138, v50, v63
	v_add_f16_e64 v139, v159, v165
	v_sub_f16_e32 v50, v50, v63
	v_sub_f16_e64 v63, v159, v165
	;; [unrolled: 4-line block ×3, first 2 shown]
	v_add_f16_e64 v140, v68, v69
	v_add_f16_e64 v141, v169, v179
	;; [unrolled: 1-line block ×4, first 2 shown]
	v_sub_f16_e32 v68, v68, v69
	v_sub_f16_e64 v69, v169, v179
	v_sub_f16_e32 v51, v51, v72
	v_sub_f16_e64 v72, v171, v177
	v_add_f16_e64 v148, v70, v61
	v_add_f16_e64 v149, v173, v175
	v_sub_f16_e32 v61, v61, v70
	v_sub_f16_e64 v70, v175, v173
	v_add_f16_e64 v155, v138, v130
	v_add_f16_e64 v156, v139, v137
	v_sub_f16_e64 v157, v138, v130
	v_sub_f16_e64 v130, v130, v144
	;; [unrolled: 1-line block ×5, first 2 shown]
	v_add_f16_e64 v163, v55, v50
	v_add_f16_e64 v164, v60, v63
	v_sub_f16_e64 v165, v55, v50
	v_sub_f16_e64 v166, v60, v63
	v_sub_f16_e32 v50, v50, v42
	v_sub_f16_e32 v63, v63, v64
	v_add_f16_e64 v167, v142, v140
	v_add_f16_e64 v168, v146, v141
	v_sub_f16_e64 v159, v139, v137
	v_sub_f16_e32 v55, v42, v55
	v_sub_f16_e32 v60, v64, v60
	v_sub_f16_e64 v169, v142, v140
	v_sub_f16_e64 v170, v146, v141
	;; [unrolled: 1-line block ×6, first 2 shown]
	v_add_f16_e64 v174, v61, v51
	v_add_f16_e64 v175, v70, v72
	v_sub_f16_e64 v176, v61, v51
	v_sub_f16_e64 v177, v70, v72
	v_sub_f16_e32 v51, v51, v68
	v_sub_f16_e32 v72, v72, v69
	v_lshrrev_b32_e32 v142, 16, v24
	v_lshrrev_b32_e32 v141, 16, v25
	;; [unrolled: 1-line block ×4, first 2 shown]
	v_add_f16_e64 v144, v144, v155
	v_add_f16_e64 v145, v145, v156
	;; [unrolled: 1-line block ×4, first 2 shown]
	v_mul_f16_e64 v130, 0x3a52, v130
	v_mul_f16_e64 v155, 0x3a52, v160
	;; [unrolled: 1-line block ×8, first 2 shown]
	v_add_f16_e64 v148, v148, v167
	v_add_f16_e64 v149, v149, v168
	v_sub_f16_e32 v61, v68, v61
	v_sub_f16_e32 v70, v69, v70
	v_lshrrev_b32_e32 v140, 16, v26
	v_lshrrev_b32_e32 v139, 16, v27
	v_add_f16_e64 v68, v174, v68
	v_add_f16_e64 v69, v175, v69
	v_mul_f16_e64 v167, 0x3a52, v171
	v_mul_f16_e64 v168, 0x3a52, v172
	v_mul_f16_e64 v171, 0x2b26, v173
	v_mul_f16_e64 v172, 0x2b26, v146
	v_mul_f16_e64 v174, 0xb846, v176
	v_mul_f16_e64 v175, 0xb846, v177
	v_mul_f16_e64 v176, 0x3b00, v51
	v_mul_f16_e64 v177, 0x3b00, v72
	v_mul_f16_e64 v178, v150, v142
	v_mul_f16_e64 v179, v71, v142
	v_mul_f16_e64 v180, v151, v141
	v_mul_f16_e64 v181, v54, v141
	v_mul_f16_e64 v186, v154, v138
	v_mul_f16_e64 v187, v143, v138
	v_mul_f16_e64 v188, v74, v137
	v_mul_f16_e64 v189, v52, v137
	v_add_f16_e64 v47, v47, v144
	v_add_f16_e64 v56, v56, v145
	v_fma_f16 v161, 0x2b26, v161, v130
	v_fma_f16 v162, 0x2b26, v162, v155
	v_fma_f16 v156, v157, 0x39e0, -v156
	v_fma_f16 v160, v159, 0x39e0, -v160
	;; [unrolled: 1-line block ×4, first 2 shown]
	v_fma_f16 v157, 0x3574, v55, v163
	v_fma_f16 v159, 0x3574, v60, v164
	v_fma_f16 v50, v50, 0x3b00, -v163
	v_fma_f16 v63, v63, 0x3b00, -v164
	;; [unrolled: 1-line block ×4, first 2 shown]
	v_add_f16_e64 v48, v48, v148
	v_add_f16_e64 v66, v66, v149
	v_mul_f16_e64 v182, v152, v140
	v_mul_f16_e64 v183, v73, v140
	;; [unrolled: 1-line block ×4, first 2 shown]
	v_fma_f16 v163, 0x2b26, v173, v167
	v_fma_f16 v146, 0x2b26, v146, v168
	v_fma_f16 v164, v169, 0x39e0, -v171
	v_fma_f16 v165, v170, 0x39e0, -v172
	;; [unrolled: 1-line block ×4, first 2 shown]
	v_fma_f16 v168, 0x3574, v61, v174
	v_fma_f16 v169, 0x3574, v70, v175
	v_fma_f16 v51, v51, 0x3b00, -v174
	v_fma_f16 v72, v72, 0x3b00, -v175
	;; [unrolled: 1-line block ×5, first 2 shown]
	v_fmac_f16_e64 v179, v150, v24
	v_fma_f16 v54, v54, v25, -v180
	v_fmac_f16_e64 v181, v151, v25
	v_fma_f16 v143, v143, v35, -v186
	;; [unrolled: 2-line block ×3, first 2 shown]
	v_fmac_f16_e64 v189, v74, v36
	v_fma_f16 v74, 0xbcab, v144, v47
	v_fma_f16 v144, 0xbcab, v145, v56
	v_fmac_f16_e64 v157, 0x370e, v42
	v_fmac_f16_e64 v159, 0x370e, v64
	v_fmac_f16_e32 v50, 0x370e, v42
	v_fmac_f16_e32 v63, 0x370e, v64
	;; [unrolled: 1-line block ×4, first 2 shown]
	v_fma_f16 v42, 0xbcab, v148, v48
	v_fma_f16 v64, 0xbcab, v149, v66
	v_fma_f16 v73, v73, v26, -v182
	v_fmac_f16_e64 v183, v152, v26
	v_fma_f16 v62, v62, v27, -v184
	v_fmac_f16_e64 v185, v153, v27
	v_fmac_f16_e64 v168, 0x370e, v68
	v_fmac_f16_e64 v169, 0x370e, v69
	v_fmac_f16_e32 v51, 0x370e, v68
	v_fmac_f16_e32 v72, 0x370e, v69
	;; [unrolled: 1-line block ×4, first 2 shown]
	v_pack_b32_f16 v47, v47, v56
	v_pack_b32_f16 v48, v48, v66
	v_add_f16_e64 v56, v161, v74
	v_add_f16_e64 v66, v162, v144
	;; [unrolled: 1-line block ×16, first 2 shown]
	v_sub_f16_e32 v52, v71, v52
	v_sub_f16_e64 v54, v54, v143
	v_sub_f16_e64 v143, v181, v187
	v_add_f16_e64 v153, v73, v62
	v_add_f16_e64 v154, v183, v185
	v_sub_f16_e32 v62, v62, v73
	v_sub_f16_e64 v73, v185, v183
	v_add_f16_e64 v160, v60, v74
	v_sub_f16_e64 v161, v130, v55
	v_sub_f16_e64 v162, v68, v63
	v_add_f16_e64 v163, v50, v69
	v_add_f16_e32 v63, v63, v68
	v_sub_f16_e32 v50, v69, v50
	v_sub_f16_e32 v60, v74, v60
	v_add_f16_e64 v55, v55, v130
	v_add_f16_e64 v68, v169, v144
	v_sub_f16_e64 v69, v145, v168
	v_add_f16_e32 v74, v70, v42
	v_sub_f16_e64 v130, v64, v61
	v_sub_f16_e32 v42, v42, v70
	v_add_f16_e32 v61, v61, v64
	v_sub_f16_e64 v64, v144, v169
	v_add_f16_e64 v70, v168, v145
	v_add_f16_e64 v144, v151, v149
	;; [unrolled: 1-line block ×3, first 2 shown]
	v_sub_f16_e64 v71, v179, v189
	v_add_f16_e64 v155, v159, v56
	v_sub_f16_e64 v156, v66, v157
	v_sub_f16_e64 v56, v56, v159
	v_add_f16_e64 v66, v157, v66
	v_sub_f16_e64 v157, v146, v72
	v_add_f16_e64 v159, v51, v148
	v_add_f16_e64 v72, v72, v146
	v_sub_f16_e64 v51, v148, v51
	v_sub_f16_e64 v146, v151, v149
	;; [unrolled: 1-line block ×7, first 2 shown]
	v_add_f16_e64 v164, v62, v54
	v_add_f16_e64 v165, v73, v143
	v_sub_f16_e64 v166, v62, v54
	v_sub_f16_e64 v167, v73, v143
	v_sub_f16_e32 v54, v54, v52
	v_add_f16_e64 v144, v153, v144
	v_add_f16_e64 v145, v154, v145
	v_sub_f16_e64 v143, v143, v71
	v_sub_f16_e32 v62, v52, v62
	v_sub_f16_e32 v73, v71, v73
	v_add_f16_e64 v52, v164, v52
	v_add_f16_e64 v71, v165, v71
	v_mul_f16_e64 v149, 0x3a52, v149
	v_mul_f16_e64 v150, 0x3a52, v150
	;; [unrolled: 1-line block ×7, first 2 shown]
	v_pack_b32_f16 v155, v155, v156
	v_add_f16_e64 v41, v41, v144
	v_add_f16_e64 v46, v46, v145
	v_mul_f16_e64 v167, 0x3b00, v143
	v_pack_b32_f16 v156, v160, v161
	v_pack_b32_f16 v160, v162, v163
	;; [unrolled: 1-line block ×8, first 2 shown]
	v_fma_f16 v68, 0x2b26, v151, v149
	v_fma_f16 v69, 0x2b26, v152, v150
	v_fma_f16 v72, v146, 0x39e0, -v153
	v_fma_f16 v74, v148, 0x39e0, -v154
	;; [unrolled: 1-line block ×4, first 2 shown]
	v_fma_f16 v148, 0x3574, v62, v164
	v_fma_f16 v149, 0x3574, v73, v165
	v_fma_f16 v54, v54, 0x3b00, -v164
	v_fma_f16 v62, v62, 0xb574, -v166
	ds_store_2addr_b32 v75, v47, v155 offset1:55
	ds_store_2addr_b32 v75, v156, v160 offset0:110 offset1:165
	ds_store_2addr_b32 v67, v50, v55 offset0:92 offset1:147
	;; [unrolled: 1-line block ×3, first 2 shown]
	v_fma_f16 v47, 0xbcab, v144, v41
	v_fma_f16 v48, 0xbcab, v145, v46
	v_fma_f16 v143, v143, 0x3b00, -v165
	v_fma_f16 v73, v73, 0xb574, -v167
	v_fmac_f16_e64 v148, 0x370e, v52
	v_fmac_f16_e64 v149, 0x370e, v71
	v_fmac_f16_e32 v54, 0x370e, v52
	v_fmac_f16_e32 v62, 0x370e, v52
	v_add_f16_e32 v50, v68, v47
	v_add_f16_e32 v52, v69, v48
	v_fmac_f16_e64 v143, 0x370e, v71
	v_fmac_f16_e32 v73, 0x370e, v71
	v_add_f16_e32 v55, v72, v47
	v_add_f16_e64 v47, v130, v47
	v_add_f16_e64 v56, v146, v48
	v_add_f16_e32 v48, v74, v48
	v_add_f16_e64 v68, v149, v50
	v_sub_f16_e64 v69, v52, v148
	v_lshlrev_b32_e32 v130, 2, v45
	v_pack_b32_f16 v66, v157, v159
	v_add_f16_e32 v71, v73, v47
	v_sub_f16_e32 v72, v56, v62
	v_sub_f16_e64 v74, v55, v143
	v_add_f16_e64 v144, v54, v48
	v_add_f16_e64 v55, v143, v55
	v_sub_f16_e32 v48, v48, v54
	v_sub_f16_e32 v47, v47, v73
	v_add_f16_e32 v54, v62, v56
	v_sub_f16_e64 v50, v50, v149
	v_add_f16_e64 v52, v148, v52
	v_pack_b32_f16 v42, v42, v61
	v_pack_b32_f16 v45, v64, v70
	ds_store_2addr_b32 v65, v60, v63 offset0:184 offset1:239
	ds_store_2addr_b32 v57, v66, v51 offset0:38 offset1:93
	v_pack_b32_f16 v41, v41, v46
	v_pack_b32_f16 v46, v68, v69
	v_add_nc_u32_e32 v51, 0xc00, v130
	v_pack_b32_f16 v56, v71, v72
	v_pack_b32_f16 v60, v74, v144
	;; [unrolled: 1-line block ×4, first 2 shown]
	v_add_nc_u32_e32 v54, 0xe00, v130
	v_pack_b32_f16 v50, v50, v52
	ds_store_2addr_b32 v57, v42, v45 offset0:148 offset1:203
	ds_store_2addr_b32 v51, v41, v46 offset0:2 offset1:57
	;; [unrolled: 1-line block ×4, first 2 shown]
	ds_store_b32 v130, v50 offset:4400
	v_lshlrev_b64_e32 v[45:46], 3, v[37:38]
	v_lshlrev_b32_e32 v47, 3, v53
	v_add_nc_u32_e32 v51, 0x898, v49
	global_wb scope:SCOPE_SE
	s_wait_dscnt 0x0
	s_barrier_signal -1
	s_barrier_wait -1
	v_add_co_u32 v45, s1, s2, v45
	s_wait_alu 0xf1ff
	v_add_co_ci_u32_e64 v46, s1, s3, v46, s1
	v_add_co_u32 v43, s1, s2, v43
	s_wait_alu 0xf1ff
	v_add_co_ci_u32_e64 v44, s1, s3, v44, s1
	;; [unrolled: 3-line block ×3, first 2 shown]
	global_inv scope:SCOPE_SE
	s_clause 0x1
	global_load_b64 v[41:42], v49, s[2:3] offset:1496
	global_load_b64 v[37:38], v47, s[2:3] offset:1496
	v_add_nc_u32_e32 v52, 0xa50, v49
	s_clause 0x4
	global_load_b64 v[45:46], v[45:46], off offset:1496
	global_load_b64 v[47:48], v[43:44], off offset:1496
	global_load_b64 v[49:50], v[39:40], off offset:1496
	global_load_b64 v[43:44], v51, s[2:3] offset:1496
	global_load_b64 v[39:40], v52, s[2:3] offset:1496
	ds_load_2addr_b32 v[69:70], v75 offset1:55
	ds_load_2addr_b32 v[53:54], v65 offset0:74 offset1:129
	ds_load_2addr_b32 v[60:61], v59 offset0:2 offset1:57
	;; [unrolled: 1-line block ×9, first 2 shown]
	ds_load_b32 v58, v75 offset:4400
	v_add_nc_u32_e32 v68, 0x600, v75
	s_add_nc_u64 s[2:3], s[12:13], 0x120c
	v_add_nc_u32_e32 v66, 0x1000, v75
	s_wait_dscnt 0xa
	v_lshrrev_b32_e32 v160, 16, v69
	s_wait_dscnt 0x9
	v_lshrrev_b32_e32 v64, 16, v54
	;; [unrolled: 2-line block ×4, first 2 shown]
	v_lshrrev_b32_e32 v170, 16, v61
	v_lshrrev_b32_e32 v173, 16, v63
	s_wait_dscnt 0x5
	v_lshrrev_b32_e32 v174, 16, v71
	s_wait_dscnt 0x4
	v_lshrrev_b32_e32 v175, 16, v73
	v_lshrrev_b32_e32 v176, 16, v72
	v_lshrrev_b32_e32 v177, 16, v74
	s_wait_dscnt 0x2
	v_lshrrev_b32_e32 v178, 16, v164
	s_wait_dscnt 0x1
	v_lshrrev_b32_e32 v179, 16, v166
	v_lshrrev_b32_e32 v180, 16, v165
	;; [unrolled: 1-line block ×3, first 2 shown]
	s_wait_dscnt 0x0
	v_lshrrev_b32_e32 v182, 16, v58
	v_lshrrev_b32_e32 v171, 16, v70
	;; [unrolled: 1-line block ×7, first 2 shown]
	s_wait_loadcnt 0x6
	v_lshrrev_b32_e32 v157, 16, v41
	v_lshrrev_b32_e32 v156, 16, v42
	s_wait_loadcnt 0x5
	v_lshrrev_b32_e32 v155, 16, v37
	v_lshrrev_b32_e32 v154, 16, v38
	s_wait_loadcnt 0x4
	v_lshrrev_b32_e32 v153, 16, v45
	v_lshrrev_b32_e32 v152, 16, v46
	s_wait_loadcnt 0x3
	v_lshrrev_b32_e32 v151, 16, v47
	v_lshrrev_b32_e32 v150, 16, v48
	s_wait_loadcnt 0x2
	v_lshrrev_b32_e32 v149, 16, v49
	v_lshrrev_b32_e32 v148, 16, v50
	s_wait_loadcnt 0x1
	v_lshrrev_b32_e32 v146, 16, v43
	v_lshrrev_b32_e32 v145, 16, v44
	s_wait_loadcnt 0x0
	v_lshrrev_b32_e32 v144, 16, v39
	v_lshrrev_b32_e32 v143, 16, v40
	v_mul_f16_e64 v183, v64, v157
	v_mul_f16_e64 v184, v54, v157
	;; [unrolled: 1-line block ×28, first 2 shown]
	v_fma_f16 v54, v54, v41, -v183
	v_fmac_f16_e64 v184, v64, v41
	v_fma_f16 v60, v60, v42, -v185
	v_fmac_f16_e64 v186, v168, v42
	;; [unrolled: 2-line block ×8, first 2 shown]
	v_fmac_f16_e64 v200, v177, v49
	v_fmac_f16_e64 v202, v178, v50
	;; [unrolled: 1-line block ×4, first 2 shown]
	v_fma_f16 v73, v74, v49, -v199
	v_fma_f16 v74, v164, v50, -v201
	v_fma_f16 v164, v166, v43, -v203
	v_fma_f16 v165, v165, v44, -v205
	v_fma_f16 v166, v167, v39, -v207
	v_fmac_f16_e64 v208, v181, v39
	v_fma_f16 v167, v58, v40, -v209
	v_fmac_f16_e64 v210, v182, v40
	v_add_f16_e64 v168, v54, v60
	v_add_f16_e64 v173, v184, v186
	;; [unrolled: 1-line block ×4, first 2 shown]
	v_add_f16_e32 v58, v69, v54
	v_sub_f16_e64 v169, v184, v186
	v_add_f16_e64 v170, v160, v184
	v_add_f16_e64 v174, v70, v62
	v_sub_f16_e64 v176, v188, v190
	v_add_f16_e64 v177, v171, v188
	v_add_f16_e64 v179, v51, v63
	;; [unrolled: 1-line block ×7, first 2 shown]
	v_sub_f16_e64 v187, v196, v198
	v_add_f16_e64 v188, v159, v196
	v_add_f16_e64 v189, v196, v198
	v_add_f16_e64 v196, v200, v202
	v_add_f16_e64 v203, v204, v206
	v_sub_f16_e64 v181, v192, v194
	v_add_f16_e64 v192, v73, v74
	v_add_f16_e64 v199, v164, v165
	;; [unrolled: 1-line block ×3, first 2 shown]
	v_sub_f16_e64 v207, v208, v210
	v_add_f16_e64 v209, v161, v208
	v_add_f16_e64 v208, v208, v210
	v_sub_f16_e32 v54, v54, v60
	v_sub_f16_e32 v62, v62, v61
	v_add_f16_e64 v191, v55, v73
	v_fma_f16 v69, -0.5, v168, v69
	v_fmac_f16_e64 v160, -0.5, v173
	v_fmac_f16_e64 v70, -0.5, v175
	;; [unrolled: 1-line block ×3, first 2 shown]
	v_sub_f16_e32 v63, v63, v64
	v_sub_f16_e32 v71, v71, v72
	v_add_f16_e64 v195, v163, v200
	v_sub_f16_e32 v73, v73, v74
	v_add_f16_e64 v197, v56, v164
	v_add_f16_e64 v201, v162, v204
	v_sub_f16_e64 v164, v164, v165
	v_add_f16_e64 v212, v58, v60
	v_add_f16_e64 v186, v170, v186
	;; [unrolled: 1-line block ×5, first 2 shown]
	v_fma_f16 v177, -0.5, v180, v51
	v_add_f16_e64 v178, v182, v194
	v_fmac_f16_e64 v172, -0.5, v183
	v_add_f16_e64 v72, v184, v72
	v_fmac_f16_e64 v52, -0.5, v185
	;; [unrolled: 2-line block ×3, first 2 shown]
	v_fmac_f16_e64 v163, -0.5, v196
	v_fmac_f16_e64 v162, -0.5, v203
	v_sub_f16_e64 v193, v200, v202
	v_sub_f16_e64 v200, v204, v206
	v_add_f16_e64 v204, v53, v166
	v_sub_f16_e64 v211, v166, v167
	v_fma_f16 v64, -0.5, v192, v55
	v_fmac_f16_e64 v56, -0.5, v199
	v_fmac_f16_e64 v53, -0.5, v205
	v_fmac_f16_e64 v161, -0.5, v208
	v_add_f16_e64 v58, v191, v74
	v_fma_f16 v55, 0x3aee, v169, v69
	v_fma_f16 v74, 0xbaee, v54, v160
	v_fmac_f16_e64 v160, 0x3aee, v54
	v_fma_f16 v54, 0x3aee, v176, v70
	v_fmac_f16_e64 v70, 0xbaee, v176
	v_fma_f16 v176, 0xbaee, v62, v171
	v_fmac_f16_e64 v69, 0xbaee, v169
	v_fmac_f16_e64 v171, 0x3aee, v62
	v_fma_f16 v180, 0x3aee, v181, v177
	v_fmac_f16_e64 v177, 0xbaee, v181
	v_fma_f16 v181, 0xbaee, v63, v172
	v_fma_f16 v182, 0x3aee, v187, v52
	;; [unrolled: 1-line block ×3, first 2 shown]
	v_fmac_f16_e64 v159, 0x3aee, v71
	v_fma_f16 v170, 0xbaee, v73, v163
	v_fmac_f16_e64 v163, 0x3aee, v73
	v_fma_f16 v169, 0xbaee, v164, v162
	v_fmac_f16_e64 v162, 0x3aee, v164
	v_pack_b32_f16 v71, v212, v186
	v_pack_b32_f16 v73, v173, v174
	v_pack_b32_f16 v164, v175, v178
	v_pack_b32_f16 v72, v72, v179
	v_fmac_f16_e64 v172, 0x3aee, v63
	v_fmac_f16_e64 v52, 0xbaee, v187
	v_add_f16_e64 v168, v195, v202
	v_add_f16_e64 v61, v197, v165
	;; [unrolled: 1-line block ×5, first 2 shown]
	v_fma_f16 v63, 0x3aee, v193, v64
	v_fmac_f16_e64 v64, 0xbaee, v193
	v_fma_f16 v62, 0x3aee, v200, v56
	v_fmac_f16_e64 v56, 0xbaee, v200
	;; [unrolled: 2-line block ×4, first 2 shown]
	v_pack_b32_f16 v55, v55, v74
	v_pack_b32_f16 v54, v54, v176
	;; [unrolled: 1-line block ×4, first 2 shown]
	ds_store_2addr_b32 v75, v71, v73 offset1:55
	v_pack_b32_f16 v71, v180, v181
	ds_store_2addr_b32 v75, v164, v72 offset0:110 offset1:165
	v_pack_b32_f16 v72, v182, v183
	v_pack_b32_f16 v73, v177, v172
	;; [unrolled: 1-line block ×12, first 2 shown]
	ds_store_2addr_b32 v65, v55, v54 offset0:129 offset1:184
	ds_store_2addr_b32 v59, v69, v70 offset0:2 offset1:57
	;; [unrolled: 1-line block ×4, first 2 shown]
	ds_store_b32 v75, v164 offset:3960
	ds_store_2addr_b32 v67, v173, v174 offset0:92 offset1:147
	ds_store_2addr_b32 v57, v160, v171 offset0:93 offset1:148
	ds_store_b32 v75, v175 offset:1320
	ds_store_b32 v75, v176 offset:2860
	ds_store_2addr_b32 v66, v172, v177 offset0:21 offset1:76
	global_wb scope:SCOPE_SE
	s_wait_dscnt 0x0
	s_barrier_signal -1
	s_barrier_wait -1
	global_inv scope:SCOPE_SE
	s_clause 0xa
	global_load_b32 v66, v[28:29], off offset:4620
	global_load_b32 v69, v75, s[2:3] offset:420
	global_load_b32 v160, v75, s[2:3] offset:1260
	;; [unrolled: 1-line block ×10, first 2 shown]
	ds_load_2addr_b32 v[54:55], v75 offset1:105
	s_wait_dscnt 0x0
	v_lshrrev_b32_e32 v70, 16, v54
	v_lshrrev_b32_e32 v72, 16, v55
	s_wait_loadcnt 0xa
	v_lshrrev_b32_e32 v71, 16, v66
	s_wait_loadcnt 0x9
	;; [unrolled: 2-line block ×3, first 2 shown]
	v_lshrrev_b32_e32 v179, 16, v171
	v_mul_f16_e32 v74, v70, v71
	v_mul_f16_e32 v71, v54, v71
	v_mul_f16_e64 v178, v72, v73
	v_mul_f16_e32 v73, v55, v73
	s_wait_loadcnt 0x3
	v_lshrrev_b32_e32 v183, 16, v174
	v_fma_f16 v54, v54, v66, -v74
	v_fmac_f16_e32 v71, v70, v66
	v_fma_f16 v55, v55, v69, -v178
	v_fmac_f16_e32 v73, v72, v69
	v_lshrrev_b32_e32 v66, 16, v160
	v_lshrrev_b32_e32 v178, 16, v164
	v_pack_b32_f16 v54, v54, v71
	v_lshrrev_b32_e32 v180, 16, v172
	v_pack_b32_f16 v55, v55, v73
	v_lshrrev_b32_e32 v181, 16, v173
	s_wait_loadcnt 0x2
	v_lshrrev_b32_e32 v184, 16, v175
	s_wait_loadcnt 0x1
	;; [unrolled: 2-line block ×3, first 2 shown]
	v_lshrrev_b32_e32 v186, 16, v177
	ds_store_2addr_b32 v75, v54, v55 offset1:105
	ds_load_2addr_b32 v[54:55], v67 offset0:82 offset1:187
	ds_load_2addr_b32 v[69:70], v68 offset0:36 offset1:141
	;; [unrolled: 1-line block ×4, first 2 shown]
	ds_load_b32 v182, v75 offset:4200
	s_wait_dscnt 0x4
	v_lshrrev_b32_e32 v187, 16, v54
	v_lshrrev_b32_e32 v189, 16, v55
	s_wait_dscnt 0x3
	v_lshrrev_b32_e32 v191, 16, v69
	v_lshrrev_b32_e32 v193, 16, v70
	;; [unrolled: 3-line block ×4, first 2 shown]
	s_wait_dscnt 0x0
	v_lshrrev_b32_e32 v203, 16, v182
	v_mul_f16_e64 v188, v54, v183
	v_mul_f16_e64 v190, v55, v66
	;; [unrolled: 1-line block ×18, first 2 shown]
	v_fmac_f16_e64 v188, v187, v174
	v_fmac_f16_e64 v190, v189, v160
	v_fma_f16 v54, v54, v174, -v183
	v_fma_f16 v55, v55, v160, -v66
	v_fmac_f16_e64 v192, v191, v164
	v_fmac_f16_e64 v194, v193, v171
	v_fma_f16 v66, v69, v164, -v178
	v_fma_f16 v69, v70, v171, -v179
	;; [unrolled: 4-line block ×4, first 2 shown]
	v_fmac_f16_e64 v204, v203, v177
	v_fma_f16 v74, v182, v177, -v186
	v_pack_b32_f16 v54, v54, v188
	v_pack_b32_f16 v55, v55, v190
	;; [unrolled: 1-line block ×9, first 2 shown]
	ds_store_2addr_b32 v67, v54, v55 offset0:82 offset1:187
	ds_store_2addr_b32 v68, v66, v69 offset0:36 offset1:141
	;; [unrolled: 1-line block ×4, first 2 shown]
	ds_store_b32 v75, v74 offset:4200
	s_and_saveexec_b32 s1, vcc_lo
	s_cbranch_execz .LBB0_13
; %bb.12:
	s_wait_alu 0xfffe
	v_add_co_u32 v54, s2, s2, v75
	s_wait_alu 0xf1ff
	v_add_co_ci_u32_e64 v55, null, s3, 0, s2
	s_clause 0xa
	global_load_b32 v66, v[54:55], off offset:220
	global_load_b32 v69, v[54:55], off offset:640
	;; [unrolled: 1-line block ×11, first 2 shown]
	ds_load_2addr_b32 v[54:55], v75 offset0:55 offset1:160
	s_wait_dscnt 0x0
	v_lshrrev_b32_e32 v70, 16, v54
	v_lshrrev_b32_e32 v72, 16, v55
	s_wait_loadcnt 0xa
	v_lshrrev_b32_e32 v71, 16, v66
	s_wait_loadcnt 0x9
	;; [unrolled: 2-line block ×4, first 2 shown]
	v_lshrrev_b32_e32 v180, 16, v171
	v_mul_f16_e32 v74, v70, v71
	v_mul_f16_e32 v71, v54, v71
	v_mul_f16_e64 v178, v72, v73
	v_mul_f16_e32 v73, v55, v73
	s_wait_loadcnt 0x5
	v_lshrrev_b32_e32 v181, 16, v172
	v_fma_f16 v54, v54, v66, -v74
	v_fmac_f16_e32 v71, v70, v66
	v_fma_f16 v55, v55, v69, -v178
	v_fmac_f16_e32 v73, v72, v69
	v_add_nc_u32_e32 v66, 0xa00, v75
	v_lshrrev_b32_e32 v178, 16, v160
	v_pack_b32_f16 v54, v54, v71
	s_wait_loadcnt 0x4
	v_lshrrev_b32_e32 v182, 16, v173
	v_pack_b32_f16 v55, v55, v73
	s_wait_loadcnt 0x3
	v_lshrrev_b32_e32 v183, 16, v174
	s_wait_loadcnt 0x2
	v_lshrrev_b32_e32 v185, 16, v175
	;; [unrolled: 2-line block ×4, first 2 shown]
	ds_store_2addr_b32 v75, v54, v55 offset0:55 offset1:160
	ds_load_2addr_b32 v[54:55], v65 offset0:9 offset1:114
	ds_load_2addr_b32 v[69:70], v68 offset0:91 offset1:196
	;; [unrolled: 1-line block ×4, first 2 shown]
	ds_load_b32 v184, v75 offset:4420
	s_wait_dscnt 0x3
	v_lshrrev_b32_e32 v192, 16, v69
	v_lshrrev_b32_e32 v188, 16, v54
	;; [unrolled: 1-line block ×4, first 2 shown]
	s_wait_dscnt 0x2
	v_lshrrev_b32_e32 v196, 16, v71
	v_lshrrev_b32_e32 v198, 16, v72
	s_wait_dscnt 0x1
	v_lshrrev_b32_e32 v200, 16, v73
	v_lshrrev_b32_e32 v202, 16, v74
	s_wait_dscnt 0x0
	v_lshrrev_b32_e32 v204, 16, v184
	v_mul_f16_e64 v189, v54, v178
	v_mul_f16_e64 v191, v55, v179
	;; [unrolled: 1-line block ×18, first 2 shown]
	v_fmac_f16_e64 v189, v188, v160
	v_fmac_f16_e64 v191, v190, v164
	v_fma_f16 v54, v54, v160, -v178
	v_fma_f16 v55, v55, v164, -v179
	v_fmac_f16_e64 v193, v192, v171
	v_fmac_f16_e64 v195, v194, v172
	v_fma_f16 v69, v69, v171, -v180
	v_fma_f16 v70, v70, v172, -v181
	;; [unrolled: 4-line block ×4, first 2 shown]
	v_fmac_f16_e64 v205, v204, v177
	v_fma_f16 v160, v184, v177, -v187
	v_pack_b32_f16 v54, v54, v189
	v_pack_b32_f16 v55, v55, v191
	;; [unrolled: 1-line block ×9, first 2 shown]
	ds_store_2addr_b32 v65, v54, v55 offset0:9 offset1:114
	ds_store_2addr_b32 v68, v69, v70 offset0:91 offset1:196
	;; [unrolled: 1-line block ×4, first 2 shown]
	ds_store_b32 v75, v160 offset:4420
.LBB0_13:
	s_wait_alu 0xfffe
	s_or_b32 exec_lo, exec_lo, s1
	global_wb scope:SCOPE_SE
	s_wait_dscnt 0x0
	s_barrier_signal -1
	s_barrier_wait -1
	global_inv scope:SCOPE_SE
	ds_load_2addr_b32 v[65:66], v75 offset1:105
	ds_load_2addr_b32 v[71:72], v67 offset0:82 offset1:187
	ds_load_2addr_b32 v[67:68], v68 offset0:36 offset1:141
	;; [unrolled: 1-line block ×4, first 2 shown]
	ds_load_b32 v209, v75 offset:4200
	s_and_saveexec_b32 s1, vcc_lo
	s_cbranch_execz .LBB0_15
; %bb.14:
	v_add_nc_u32_e32 v51, 0x400, v75
	v_add_nc_u32_e32 v52, 0x600, v75
	ds_load_2addr_b32 v[57:58], v75 offset0:55 offset1:160
	v_add_nc_u32_e32 v53, 0xa00, v75
	ds_load_b32 v147, v75 offset:4420
	ds_load_2addr_b32 v[63:64], v51 offset0:9 offset1:114
	v_add_nc_u32_e32 v51, 0xc00, v75
	ds_load_2addr_b32 v[61:62], v52 offset0:91 offset1:196
	ds_load_2addr_b32 v[59:60], v53 offset0:45 offset1:150
	;; [unrolled: 1-line block ×3, first 2 shown]
	s_wait_dscnt 0x5
	v_lshrrev_b32_e32 v159, 16, v57
	v_lshrrev_b32_e32 v168, 16, v58
	s_wait_dscnt 0x4
	v_lshrrev_b32_e32 v158, 16, v147
	s_wait_dscnt 0x3
	v_lshrrev_b32_e32 v170, 16, v63
	v_lshrrev_b32_e32 v163, 16, v64
	s_wait_dscnt 0x2
	v_lshrrev_b32_e32 v166, 16, v61
	;; [unrolled: 3-line block ×4, first 2 shown]
	v_lshrrev_b32_e32 v161, 16, v52
	v_dual_mov_b32 v56, v59 :: v_dual_mov_b32 v53, v52
	v_mov_b32_e32 v52, v57
.LBB0_15:
	s_wait_alu 0xfffe
	s_or_b32 exec_lo, exec_lo, s1
	v_sub_f16_e64 v189, v168, v158
	v_add_f16_e64 v57, v147, v58
	v_add_f16_e64 v197, v158, v168
	v_sub_f16_e64 v194, v170, v161
	v_sub_f16_e64 v171, v58, v147
	v_mul_f16_e64 v177, 0xb853, v189
	v_add_f16_e32 v59, v53, v63
	v_add_f16_e64 v199, v161, v170
	v_mul_f16_e64 v184, 0x3abb, v197
	v_mul_f16_e64 v186, 0xbb47, v189
	v_fma_f16 v55, v57, 0x3abb, -v177
	v_mul_f16_e64 v190, 0x36a6, v197
	v_mul_f16_e64 v178, 0xbb47, v194
	v_fma_f16 v160, 0xb853, v171, v184
	v_fma_f16 v164, v57, 0x36a6, -v186
	v_add_f16_e32 v55, v52, v55
	v_fma_f16 v173, 0xbb47, v171, v190
	v_sub_f16_e64 v172, v63, v53
	v_fma_f16 v174, v59, 0x36a6, -v178
	v_mul_f16_e64 v185, 0x36a6, v199
	v_sub_f16_e64 v198, v163, v167
	v_mul_f16_e64 v191, 0xba0c, v194
	v_add_f16_e64 v204, v167, v163
	v_mul_f16_e64 v195, 0xb93d, v199
	s_wait_dscnt 0x5
	v_pk_add_f16 v54, v65, v66
	v_add_f16_e64 v160, v159, v160
	v_add_f16_e64 v164, v52, v164
	;; [unrolled: 1-line block ×4, first 2 shown]
	v_fma_f16 v176, 0xbb47, v172, v185
	v_add_f16_e64 v173, v51, v64
	v_mul_f16_e64 v180, 0xbbeb, v198
	v_sub_f16_e64 v174, v64, v51
	v_mul_f16_e64 v183, 0xb08e, v204
	v_fma_f16 v179, v59, 0xb93d, -v191
	v_fma_f16 v181, 0xba0c, v172, v195
	v_mul_f16_e64 v192, 0x3482, v198
	v_sub_f16_e64 v202, v166, v165
	v_mul_f16_e64 v201, 0xbbad, v204
	v_fma_f16 v182, v173, 0xb08e, -v180
	v_add_f16_e64 v160, v176, v160
	v_fma_f16 v176, 0xbbeb, v174, v183
	v_add_f16_e64 v164, v179, v164
	v_add_f16_e64 v179, v181, v175
	;; [unrolled: 1-line block ×3, first 2 shown]
	v_fma_f16 v181, v173, 0xbbad, -v192
	v_add_f16_e64 v175, v60, v61
	v_fma_f16 v188, 0x3482, v174, v201
	v_mul_f16_e64 v193, 0x3beb, v202
	s_wait_dscnt 0x4
	v_pk_add_f16 v54, v54, v71
	v_add_f16_e64 v55, v182, v55
	v_add_f16_e64 v160, v176, v160
	v_mul_f16_e64 v182, 0xba0c, v202
	v_sub_f16_e64 v176, v61, v60
	v_mul_f16_e64 v187, 0xb93d, v205
	v_add_f16_e64 v164, v181, v164
	v_add_f16_e64 v200, v188, v179
	v_fma_f16 v179, v175, 0xb08e, -v193
	v_mul_f16_e64 v203, 0xb08e, v205
	v_pk_add_f16 v54, v54, v72
	v_fma_f16 v196, v175, 0xb93d, -v182
	v_fma_f16 v181, 0xba0c, v176, v187
	v_add_f16_e64 v210, v179, v164
	v_sub_f16_e64 v207, v169, v162
	v_fma_f16 v164, 0x3beb, v176, v203
	v_add_f16_e64 v208, v162, v169
	s_wait_dscnt 0x3
	v_pk_add_f16 v54, v54, v67
	v_add_f16_e64 v55, v196, v55
	v_add_f16_e64 v160, v181, v160
	;; [unrolled: 1-line block ×3, first 2 shown]
	v_mul_f16_e64 v188, 0xb482, v207
	v_add_f16_e64 v211, v164, v200
	v_sub_f16_e64 v181, v62, v56
	v_mul_f16_e64 v196, 0xbbad, v208
	v_mul_f16_e64 v200, 0x3853, v207
	v_pk_add_f16 v54, v54, v68
	v_fma_f16 v164, v179, 0xbbad, -v188
	v_mul_f16_e64 v206, 0x3abb, v208
	v_fma_f16 v212, 0xb482, v181, v196
	v_fma_f16 v213, v179, 0x3abb, -v200
	s_wait_dscnt 0x2
	v_pk_add_f16 v215, v54, v69
	v_add_f16_e64 v55, v164, v55
	v_fma_f16 v214, 0x3853, v181, v206
	v_add_f16_e64 v164, v212, v160
	s_wait_dscnt 0x0
	v_pk_add_f16 v212, v66, v209 neg_lo:[0,1] neg_hi:[0,1]
	v_add_f16_e64 v54, v213, v210
	v_pk_add_f16 v210, v215, v70
	v_add_f16_e64 v160, v214, v211
	v_pk_add_f16 v66, v209, v66
	v_pk_mul_f16 v211, 0xb853, v212 op_sel_hi:[0,1]
	v_lshrrev_b32_e32 v213, 16, v212
	v_pk_add_f16 v210, v210, v73
	v_pk_add_f16 v225, v71, v74 neg_lo:[0,1] neg_hi:[0,1]
	v_lshrrev_b32_e32 v216, 16, v66
	v_pk_fma_f16 v214, 0x3abb, v66, v211 op_sel:[0,0,1] op_sel_hi:[0,1,0]
	v_pk_fma_f16 v211, 0x3abb, v66, v211 op_sel:[0,0,1] op_sel_hi:[0,1,0] neg_lo:[0,0,1] neg_hi:[0,0,1]
	v_mul_f16_e64 v215, 0xbb47, v213
	v_pk_add_f16 v210, v210, v74
	v_pk_add_f16 v71, v74, v71
	v_pk_mul_f16 v74, 0xbb47, v225 op_sel_hi:[0,1]
	v_lshrrev_b32_e32 v228, 16, v225
	v_bfi_b32 v217, 0xffff, v214, v211
	v_fma_f16 v218, 0x36a6, v66, v215
	v_mul_f16_e64 v219, 0x36a6, v216
	v_mul_f16_e64 v222, 0xb08e, v216
	;; [unrolled: 1-line block ×3, first 2 shown]
	v_pk_fma_f16 v229, 0x36a6, v71, v74 op_sel:[0,0,1] op_sel_hi:[0,1,0]
	v_pk_fma_f16 v74, 0x36a6, v71, v74 op_sel:[0,0,1] op_sel_hi:[0,1,0] neg_lo:[0,0,1] neg_hi:[0,0,1]
	v_mul_f16_e64 v230, 0xba0c, v228
	v_lshrrev_b32_e32 v231, 16, v71
	v_pk_add_f16 v209, v210, v209
	v_pk_add_f16 v210, v65, v217
	v_add_f16_e64 v217, v65, v218
	v_fma_f16 v218, 0x3b47, v212, v219
	v_lshrrev_b32_e32 v220, 16, v65
	v_mul_f16_e64 v221, 0xbbeb, v213
	v_fma_f16 v215, v66, 0x36a6, -v215
	v_fmac_f16_e64 v219, 0xbb47, v212
	v_fma_f16 v224, 0x3beb, v212, v222
	v_fmac_f16_e64 v222, 0xbbeb, v212
	v_fma_f16 v227, 0x3a0c, v212, v216
	v_fmac_f16_e64 v216, 0xba0c, v212
	v_bfi_b32 v232, 0xffff, v229, v74
	v_fma_f16 v233, 0xb93d, v71, v230
	v_mul_f16_e64 v234, 0xb93d, v231
	v_add_f16_e64 v218, v220, v218
	v_fma_f16 v223, 0xb08e, v66, v221
	v_add_f16_e64 v215, v65, v215
	v_add_f16_e64 v219, v220, v219
	v_fma_f16 v221, v66, 0xb08e, -v221
	v_add_f16_e64 v224, v220, v224
	v_add_f16_e64 v222, v220, v222
	;; [unrolled: 1-line block ×4, first 2 shown]
	v_pk_add_f16 v210, v232, v210
	v_add_f16_e64 v217, v233, v217
	v_fma_f16 v220, 0x3a0c, v225, v234
	v_mul_f16_e64 v232, 0x3482, v228
	v_mul_f16_e64 v233, 0xbbad, v231
	v_fma_f16 v230, v71, 0xb93d, -v230
	v_add_f16_e64 v223, v65, v223
	v_mul_f16_e64 v213, 0xba0c, v213
	v_add_f16_e64 v221, v65, v221
	v_add_f16_e64 v218, v220, v218
	v_fma_f16 v220, 0xbbad, v71, v232
	v_fma_f16 v235, 0xb482, v225, v233
	v_add_f16_e64 v215, v230, v215
	v_fma_f16 v230, v71, 0xbbad, -v232
	v_fma_f16 v226, 0xb93d, v66, v213
	v_fmac_f16_e64 v234, 0xba0c, v225
	v_add_f16_e64 v220, v220, v223
	v_add_f16_e64 v223, v235, v224
	v_mul_f16_e64 v224, 0x3beb, v228
	v_add_f16_e64 v221, v230, v221
	v_pk_add_f16 v230, v72, v73 neg_lo:[0,1] neg_hi:[0,1]
	v_pk_add_f16 v72, v73, v72
	v_add_f16_e64 v226, v65, v226
	v_fma_f16 v213, v66, 0xb93d, -v213
	v_add_f16_e64 v219, v234, v219
	v_mul_f16_e64 v228, 0xb08e, v231
	v_fmac_f16_e64 v233, 0x3482, v225
	v_fma_f16 v231, 0xb08e, v71, v224
	v_pk_mul_f16 v73, 0xbbeb, v230 op_sel_hi:[0,1]
	v_lshrrev_b32_e32 v234, 16, v72
	v_add_f16_e64 v213, v65, v213
	v_fma_f16 v232, 0xbbeb, v225, v228
	v_add_f16_e64 v222, v233, v222
	v_lshrrev_b32_e32 v233, 16, v230
	v_add_f16_e64 v226, v231, v226
	v_pk_fma_f16 v231, 0xb08e, v72, v73 op_sel:[0,0,1] op_sel_hi:[0,1,0]
	v_pk_fma_f16 v73, 0xb08e, v72, v73 op_sel:[0,0,1] op_sel_hi:[0,1,0] neg_lo:[0,0,1] neg_hi:[0,0,1]
	v_fma_f16 v224, v71, 0xb08e, -v224
	v_fmac_f16_e64 v228, 0x3beb, v225
	v_mul_f16_e64 v237, 0xbbad, v234
	v_add_f16_e64 v227, v232, v227
	v_mul_f16_e64 v232, 0x3482, v233
	v_bfi_b32 v235, 0xffff, v231, v73
	v_add_f16_e64 v213, v224, v213
	v_add_f16_e64 v216, v228, v216
	v_fma_f16 v224, 0xb482, v230, v237
	v_mul_f16_e64 v228, 0x3b47, v233
	v_fma_f16 v236, 0xbbad, v72, v232
	v_pk_add_f16 v210, v235, v210
	v_mul_f16_e64 v235, 0x36a6, v234
	v_add_f16_e64 v218, v224, v218
	v_fma_f16 v224, 0x36a6, v72, v228
	v_fma_f16 v228, v72, 0x36a6, -v228
	v_add_f16_e64 v217, v236, v217
	v_fma_f16 v232, v72, 0xbbad, -v232
	v_fma_f16 v236, 0xbb47, v230, v235
	v_add_f16_e64 v220, v224, v220
	v_mul_f16_e64 v224, 0xb853, v233
	v_add_f16_e64 v221, v228, v221
	v_pk_add_f16 v228, v67, v70 neg_lo:[0,1] neg_hi:[0,1]
	v_pk_add_f16 v67, v70, v67
	v_add_f16_e64 v215, v232, v215
	v_add_f16_e64 v223, v236, v223
	v_mul_f16_e64 v232, 0x3abb, v234
	v_fmac_f16_e64 v235, 0x3b47, v230
	v_fma_f16 v233, 0x3abb, v72, v224
	v_pk_mul_f16 v70, 0xba0c, v228 op_sel_hi:[0,1]
	v_lshrrev_b32_e32 v236, 16, v67
	v_fmac_f16_e64 v237, 0x3482, v230
	v_fma_f16 v234, 0x3853, v230, v232
	v_add_f16_e64 v222, v235, v222
	v_lshrrev_b32_e32 v235, 16, v228
	v_add_f16_e64 v226, v233, v226
	v_pk_fma_f16 v233, 0xb93d, v67, v70 op_sel:[0,0,1] op_sel_hi:[0,1,0]
	v_pk_fma_f16 v70, 0xb93d, v67, v70 op_sel:[0,0,1] op_sel_hi:[0,1,0] neg_lo:[0,0,1] neg_hi:[0,0,1]
	v_fma_f16 v224, v72, 0x3abb, -v224
	v_fmac_f16_e64 v232, 0xb853, v230
	v_mul_f16_e64 v239, 0xb08e, v236
	v_add_f16_e64 v219, v237, v219
	v_add_f16_e64 v227, v234, v227
	v_mul_f16_e64 v234, 0x3beb, v235
	v_bfi_b32 v237, 0xffff, v233, v70
	v_add_f16_e64 v213, v224, v213
	v_add_f16_e64 v216, v232, v216
	v_fma_f16 v224, 0xbbeb, v228, v239
	v_mul_f16_e64 v232, 0xb853, v235
	v_fma_f16 v238, 0xb08e, v67, v234
	v_pk_add_f16 v210, v237, v210
	v_mul_f16_e64 v237, 0x3abb, v236
	v_fma_f16 v234, v67, 0xb08e, -v234
	v_add_f16_e64 v218, v224, v218
	v_fma_f16 v224, 0x3abb, v67, v232
	v_fma_f16 v232, v67, 0x3abb, -v232
	v_add_f16_e64 v217, v238, v217
	v_fma_f16 v238, 0x3853, v228, v237
	v_add_f16_e64 v215, v234, v215
	v_add_f16_e64 v220, v224, v220
	v_mul_f16_e64 v224, 0xb482, v235
	v_mul_f16_e64 v234, 0xbbad, v236
	v_add_f16_e64 v221, v232, v221
	v_pk_add_f16 v232, v68, v69 neg_lo:[0,1] neg_hi:[0,1]
	v_fmac_f16_e64 v237, 0xb853, v228
	v_fma_f16 v235, 0xbbad, v67, v224
	v_fma_f16 v236, 0x3482, v228, v234
	v_pk_add_f16 v68, v69, v68
	v_pk_mul_f16 v69, 0xb482, v232 op_sel_hi:[0,1]
	v_add_f16_e64 v222, v237, v222
	v_lshrrev_b32_e32 v237, 16, v232
	v_fmac_f16_e64 v239, 0x3beb, v228
	v_add_f16_e64 v223, v238, v223
	v_add_f16_e64 v226, v235, v226
	;; [unrolled: 1-line block ×3, first 2 shown]
	v_pk_fma_f16 v235, 0xbbad, v68, v69 op_sel:[0,0,1] op_sel_hi:[0,1,0]
	v_pk_fma_f16 v69, 0xbbad, v68, v69 op_sel:[0,0,1] op_sel_hi:[0,1,0] neg_lo:[0,0,1] neg_hi:[0,0,1]
	v_mul_f16_e64 v236, 0x3853, v237
	v_fma_f16 v224, v67, 0xbbad, -v224
	v_lshrrev_b32_e32 v238, 16, v68
	v_add_f16_e64 v219, v239, v219
	v_fmac_f16_e64 v234, 0xb482, v228
	v_bfi_b32 v239, 0xffff, v235, v69
	v_fma_f16 v240, 0x3abb, v68, v236
	v_add_f16_e64 v213, v224, v213
	v_mul_f16_e64 v224, 0x3abb, v238
	v_add_f16_e64 v216, v234, v216
	v_pk_add_f16 v210, v239, v210
	v_add_f16_e64 v217, v240, v217
	v_mul_f16_e64 v234, 0xba0c, v237
	v_fma_f16 v239, 0xb853, v232, v224
	v_fma_f16 v236, v68, 0x3abb, -v236
	v_fmac_f16_e64 v224, 0x3853, v232
	v_mul_f16_e64 v240, 0xb93d, v238
	v_fma_f16 v241, 0xb93d, v68, v234
	v_fma_f16 v234, v68, 0xb93d, -v234
	v_add_f16_e64 v215, v236, v215
	v_add_f16_e64 v219, v224, v219
	v_fma_f16 v224, 0x3a0c, v232, v240
	v_mul_f16_e64 v236, 0x3b47, v237
	v_add_f16_e64 v221, v234, v221
	v_pk_mul_f16 v66, 0xbbad, v66 op_sel_hi:[0,1]
	v_pk_mul_f16 v71, 0x3abb, v71 op_sel_hi:[0,1]
	v_add_f16_e64 v223, v224, v223
	v_mul_f16_e64 v224, 0x36a6, v238
	v_fma_f16 v234, 0x36a6, v68, v236
	v_add_f16_e64 v218, v239, v218
	v_add_f16_e64 v220, v241, v220
	v_pk_mul_f16 v72, 0xb93d, v72 op_sel_hi:[0,1]
	v_fma_f16 v237, 0xbb47, v232, v224
	v_fmac_f16_e64 v224, 0x3b47, v232
	v_add_f16_e64 v226, v234, v226
	v_pk_fma_f16 v234, 0xb482, v212, v66 op_sel:[0,0,1] op_sel_hi:[0,1,0]
	v_pk_fma_f16 v66, 0xb482, v212, v66 op_sel:[0,0,1] op_sel_hi:[0,1,0] neg_lo:[0,1,0] neg_hi:[0,1,0]
	v_pk_fma_f16 v212, 0x3853, v225, v71 op_sel:[0,0,1] op_sel_hi:[0,1,0]
	v_add_f16_e64 v216, v224, v216
	v_pack_b32_f16 v220, v220, v223
	v_alignbit_b32 v224, s0, v234, 16
	v_pack_b32_f16 v217, v217, v218
	v_alignbit_b32 v223, s0, v65, 16
	v_pk_add_f16 v66, v65, v66 op_sel:[1,0] op_sel_hi:[0,1]
	v_pk_fma_f16 v71, 0x3853, v225, v71 op_sel:[0,0,1] op_sel_hi:[0,1,0] neg_lo:[0,1,0] neg_hi:[0,1,0]
	v_pk_add_f16 v218, v65, v224
	v_alignbit_b32 v224, s0, v212, 16
	v_pk_fma_f16 v225, 0xba0c, v230, v72 op_sel:[0,0,1] op_sel_hi:[0,1,0]
	v_pk_mul_f16 v67, 0x36a6, v67 op_sel_hi:[0,1]
	v_pk_add_f16 v223, v223, v234
	v_pk_add_f16 v66, v71, v66
	;; [unrolled: 1-line block ×3, first 2 shown]
	v_alignbit_b32 v71, s0, v225, 16
	v_pk_fma_f16 v72, 0xba0c, v230, v72 op_sel:[0,0,1] op_sel_hi:[0,1,0] neg_lo:[0,1,0] neg_hi:[0,1,0]
	v_pk_fma_f16 v224, 0x3b47, v228, v67 op_sel:[0,0,1] op_sel_hi:[0,1,0]
	v_bfi_b32 v211, 0xffff, v211, v214
	v_fma_f16 v236, v68, 0x36a6, -v236
	v_pk_add_f16 v212, v212, v223
	v_pk_add_f16 v71, v71, v218
	v_pk_add_f16 v66, v72, v66
	v_alignbit_b32 v72, s0, v224, 16
	v_pk_mul_f16 v68, 0xb08e, v68 op_sel_hi:[0,1]
	v_pk_add_f16 v65, v65, v211
	v_bfi_b32 v74, 0xffff, v74, v229
	v_pk_add_f16 v211, v225, v212
	v_pk_fma_f16 v67, 0x3b47, v228, v67 op_sel:[0,0,1] op_sel_hi:[0,1,0] neg_lo:[0,1,0] neg_hi:[0,1,0]
	v_pk_add_f16 v71, v72, v71
	v_pk_fma_f16 v72, 0xbbeb, v232, v68 op_sel:[0,0,1] op_sel_hi:[0,1,0]
	v_pk_add_f16 v65, v74, v65
	v_bfi_b32 v73, 0xffff, v73, v231
	v_pk_add_f16 v66, v67, v66
	v_pk_fma_f16 v67, 0xbbeb, v232, v68 op_sel:[0,0,1] op_sel_hi:[0,1,0] neg_lo:[0,1,0] neg_hi:[0,1,0]
	v_pk_add_f16 v68, v224, v211
	v_alignbit_b32 v74, s0, v72, 16
	v_fmac_f16_e64 v240, 0xba0c, v232
	v_pk_add_f16 v65, v73, v65
	v_bfi_b32 v70, 0xffff, v70, v233
	v_add_f16_e64 v227, v237, v227
	v_pk_add_f16 v66, v67, v66
	v_pk_add_f16 v67, v72, v68
	;; [unrolled: 1-line block ×3, first 2 shown]
	v_add_f16_e64 v222, v240, v222
	v_add_f16_e64 v213, v236, v213
	v_pk_add_f16 v65, v70, v65
	v_bfi_b32 v69, 0xffff, v69, v235
	v_pack_b32_f16 v71, v226, v227
	v_alignbit_b32 v67, v67, v66, 16
	v_pack_b32_f16 v66, v68, v66
	v_pack_b32_f16 v68, v221, v222
	;; [unrolled: 1-line block ×3, first 2 shown]
	global_wb scope:SCOPE_SE
	s_barrier_signal -1
	s_barrier_wait -1
	global_inv scope:SCOPE_SE
	v_pk_add_f16 v65, v69, v65
	v_pack_b32_f16 v69, v215, v219
	ds_store_2addr_b32 v100, v209, v210 offset1:1
	ds_store_2addr_b32 v100, v217, v220 offset0:2 offset1:3
	ds_store_b32 v100, v71 offset:16
	ds_store_2addr_b32 v100, v66, v67 offset0:5 offset1:6
	ds_store_2addr_b32 v100, v70, v68 offset0:7 offset1:8
	;; [unrolled: 1-line block ×3, first 2 shown]
	s_and_saveexec_b32 s1, vcc_lo
	s_cbranch_execz .LBB0_17
; %bb.16:
	v_mul_f16_e64 v100, 0xba0c, v171
	v_mul_f16_e64 v214, 0x3beb, v172
	v_add_f16_e32 v58, v58, v52
	v_mul_f16_e64 v219, 0xb853, v174
	v_mul_f16_e64 v222, 0xba0c, v189
	v_fma_f16 v213, 0xb93d, v197, v100
	v_fma_f16 v218, 0xb08e, v199, v214
	v_add_f16_e32 v58, v63, v58
	v_add_f16_e64 v63, v168, v159
	v_fma_f16 v100, v197, 0xb93d, -v100
	v_add_f16_e64 v213, v159, v213
	v_mul_f16_e32 v65, 0x3abb, v57
	v_mul_f16_e64 v223, 0xb482, v176
	v_add_f16_e32 v58, v64, v58
	v_add_f16_e64 v63, v170, v63
	v_add_f16_e64 v213, v218, v213
	v_fma_f16 v218, 0x3abb, v204, v219
	v_fma_f16 v225, v57, 0xb93d, -v222
	v_mul_f16_e64 v226, 0x3beb, v194
	v_add_f16_e64 v100, v159, v100
	v_fma_f16 v214, v199, 0xb08e, -v214
	v_mul_f16_e32 v69, 0x36a6, v59
	v_add_f16_e64 v213, v218, v213
	v_fma_f16 v218, 0xbbad, v205, v223
	v_mul_f16_e64 v227, 0x3b47, v181
	v_add_f16_e32 v58, v61, v58
	v_add_f16_e64 v61, v163, v63
	v_add_f16_e64 v63, v65, v177
	;; [unrolled: 1-line block ×3, first 2 shown]
	v_fma_f16 v228, v59, 0xb08e, -v226
	v_mul_f16_e64 v229, 0xb853, v198
	v_add_f16_e64 v100, v214, v100
	v_fma_f16 v214, v204, 0x3abb, -v219
	v_mul_f16_e64 v73, 0xb08e, v173
	v_add_f16_e64 v213, v218, v213
	v_fma_f16 v218, 0x36a6, v208, v227
	v_mul_f16_e64 v230, 0xbbad, v197
	v_add_f16_e32 v58, v62, v58
	v_add_f16_e64 v61, v166, v61
	v_add_f16_e32 v62, v52, v63
	v_add_f16_e64 v63, v69, v178
	v_add_f16_e64 v225, v228, v225
	v_fma_f16 v228, v173, 0x3abb, -v229
	v_mul_f16_e64 v231, 0xb482, v202
	v_fmac_f16_e64 v222, 0xb93d, v57
	v_add_f16_e64 v100, v214, v100
	v_fma_f16 v214, v205, 0xbbad, -v223
	v_mul_f16_e64 v197, 0xb08e, v197
	v_mul_f16_e64 v211, 0xb93d, v175
	v_add_f16_e64 v213, v218, v213
	v_fma_f16 v218, 0x3482, v171, v230
	v_mul_f16_e64 v232, 0x3abb, v199
	v_add_f16_e32 v56, v56, v58
	v_add_f16_e64 v58, v169, v61
	v_fmac_f16_e64 v230, 0xb482, v171
	v_add_f16_e32 v61, v63, v62
	v_add_f16_e64 v62, v73, v180
	v_add_f16_e64 v225, v228, v225
	v_fma_f16 v228, v175, 0xbbad, -v231
	v_mul_f16_e64 v233, 0x3b47, v207
	v_add_f16_e64 v222, v52, v222
	v_fmac_f16_e64 v226, 0xb08e, v59
	v_add_f16_e64 v100, v214, v100
	v_fma_f16 v214, 0x3beb, v171, v197
	v_mul_f16_e64 v199, 0xbbad, v199
	v_mul_f16_e64 v217, 0xbbad, v179
	v_add_f16_e64 v218, v159, v218
	v_fma_f16 v234, 0xb853, v172, v232
	v_mul_f16_e64 v235, 0xb93d, v204
	v_add_f16_e32 v56, v60, v56
	v_add_f16_e64 v58, v162, v58
	v_add_f16_e64 v60, v159, v230
	v_fmac_f16_e64 v232, 0x3853, v172
	v_add_f16_e32 v61, v62, v61
	v_add_f16_e64 v62, v211, v182
	v_mul_f16_e64 v66, 0xb853, v171
	v_mul_f16_e32 v67, 0x36a6, v57
	v_mul_f16_e64 v68, 0xbb47, v171
	v_add_f16_e64 v225, v228, v225
	v_fma_f16 v228, v179, 0x36a6, -v233
	v_mul_f16_e64 v236, 0xb482, v189
	v_add_f16_e64 v222, v226, v222
	v_fma_f16 v223, v208, 0x36a6, -v227
	v_add_f16_e64 v214, v159, v214
	v_fma_f16 v226, 0xb482, v172, v199
	v_mul_f16_e64 v204, 0x36a6, v204
	v_mul_f16_e64 v189, 0xbbeb, v189
	v_add_f16_e64 v218, v234, v218
	v_fma_f16 v234, 0x3a0c, v174, v235
	v_add_f16_e32 v51, v51, v56
	v_add_f16_e64 v56, v165, v58
	v_add_f16_e64 v58, v232, v60
	v_fmac_f16_e64 v235, 0xba0c, v174
	v_add_f16_e32 v60, v62, v61
	v_add_f16_e64 v61, v217, v188
	v_mul_f16_e64 v70, 0xbb47, v172
	v_sub_f16_e64 v66, v184, v66
	v_mul_f16_e32 v71, 0xb93d, v59
	v_mul_f16_e64 v72, 0xba0c, v172
	v_mul_f16_e64 v237, 0x36a6, v205
	v_add_f16_e64 v225, v228, v225
	v_fma_f16 v228, 0xbbad, v57, v236
	v_mul_f16_e64 v238, 0x3853, v194
	v_add_f16_e64 v100, v223, v100
	v_add_f16_e64 v214, v226, v214
	v_fma_f16 v223, 0xbb47, v174, v204
	v_mul_f16_e64 v205, 0x3abb, v205
	v_fma_f16 v226, 0xb08e, v57, v189
	v_mul_f16_e64 v194, 0x3482, v194
	v_sub_f16_e64 v68, v190, v68
	v_add_f16_e64 v67, v67, v186
	v_add_f16_e32 v51, v53, v51
	v_add_f16_e64 v53, v167, v56
	v_add_f16_e64 v56, v235, v58
	v_add_f16_e32 v58, v61, v60
	v_fma_f16 v60, v57, 0xbbad, -v236
	v_fmac_f16_e64 v197, 0xbbeb, v171
	v_fma_f16 v57, v57, 0xb08e, -v189
	v_mul_f16_e64 v74, 0xbbeb, v174
	v_add_f16_e64 v66, v159, v66
	v_sub_f16_e64 v70, v185, v70
	v_mul_f16_e64 v209, 0xbbad, v173
	v_mul_f16_e64 v210, 0x3482, v174
	v_add_f16_e64 v228, v52, v228
	v_fma_f16 v240, 0x3abb, v59, v238
	v_mul_f16_e64 v241, 0xba0c, v198
	v_add_f16_e64 v214, v223, v214
	v_fma_f16 v223, 0x3853, v176, v205
	v_add_f16_e64 v226, v52, v226
	v_fma_f16 v227, 0xbbad, v59, v194
	v_mul_f16_e64 v198, 0x3b47, v198
	v_add_f16_e64 v68, v159, v68
	v_sub_f16_e64 v72, v195, v72
	v_add_f16_e32 v67, v52, v67
	v_add_f16_e64 v71, v71, v191
	v_add_f16_e64 v218, v234, v218
	v_fma_f16 v234, 0xbb47, v176, v237
	v_mul_f16_e64 v239, 0xb08e, v208
	v_add_f16_e32 v60, v52, v60
	v_fma_f16 v61, v59, 0x3abb, -v238
	v_add_f16_e64 v62, v159, v197
	v_fmac_f16_e64 v199, 0x3482, v172
	v_add_f16_e32 v52, v52, v57
	v_fma_f16 v57, v59, 0xbbad, -v194
	v_mul_f16_e64 v212, 0xba0c, v176
	v_add_f16_e32 v66, v70, v66
	v_sub_f16_e64 v70, v183, v74
	v_mul_f16_e64 v215, 0xb08e, v175
	v_mul_f16_e64 v216, 0x3beb, v176
	v_add_f16_e64 v228, v240, v228
	v_fma_f16 v240, 0xb93d, v173, v241
	v_mul_f16_e64 v242, 0x3b47, v202
	v_add_f16_e64 v214, v223, v214
	v_mul_f16_e64 v190, 0xb93d, v208
	v_add_f16_e64 v208, v227, v226
	v_fma_f16 v223, 0x36a6, v173, v198
	v_mul_f16_e64 v202, 0xb853, v202
	v_add_f16_e32 v68, v72, v68
	v_sub_f16_e64 v72, v201, v210
	v_add_f16_e32 v67, v71, v67
	v_add_f16_e64 v71, v209, v192
	v_add_f16_e64 v218, v234, v218
	v_fma_f16 v234, 0x3beb, v181, v239
	v_fmac_f16_e64 v229, 0x3abb, v173
	v_add_f16_e32 v59, v61, v60
	v_fma_f16 v60, v173, 0xb93d, -v241
	v_add_f16_e64 v61, v199, v62
	v_fmac_f16_e64 v204, 0x3b47, v174
	v_add_f16_e32 v52, v57, v52
	v_fma_f16 v57, v173, 0x36a6, -v198
	v_mul_f16_e64 v220, 0xb482, v181
	v_add_f16_e32 v64, v70, v66
	v_sub_f16_e64 v66, v187, v212
	v_mul_f16_e64 v221, 0x3abb, v179
	v_mul_f16_e64 v224, 0x3853, v181
	v_add_f16_e64 v228, v240, v228
	v_mul_f16_e64 v240, 0xbbeb, v207
	v_add_f16_e64 v208, v223, v208
	v_fma_f16 v223, 0x3abb, v175, v202
	v_mul_f16_e64 v207, 0xba0c, v207
	v_add_f16_e32 v68, v72, v68
	v_sub_f16_e64 v72, v203, v216
	v_add_f16_e32 v67, v71, v67
	v_add_f16_e64 v71, v215, v193
	v_add_f16_e64 v218, v234, v218
	v_fma_f16 v234, 0x36a6, v175, v242
	v_add_f16_e64 v222, v229, v222
	v_fmac_f16_e64 v231, 0xbbad, v175
	v_fmac_f16_e64 v237, 0x3b47, v176
	v_add_f16_e32 v59, v60, v59
	v_fma_f16 v60, v175, 0x36a6, -v242
	v_add_f16_e64 v61, v204, v61
	v_fmac_f16_e64 v205, 0xb853, v176
	v_add_f16_e32 v52, v57, v52
	v_fma_f16 v57, v175, 0x3abb, -v202
	v_add_f16_e32 v64, v66, v64
	v_sub_f16_e64 v65, v196, v220
	v_add_f16_e64 v53, v161, v53
	v_fma_f16 v195, 0x3a0c, v181, v190
	v_add_f16_e64 v186, v223, v208
	v_fma_f16 v201, 0xb93d, v179, v207
	v_add_f16_e32 v68, v72, v68
	v_sub_f16_e64 v72, v206, v224
	v_add_f16_e32 v67, v71, v67
	v_add_f16_e64 v71, v221, v200
	v_add_f16_e64 v219, v234, v228
	v_fma_f16 v228, 0xb08e, v179, v240
	v_add_f16_e64 v222, v231, v222
	v_fmac_f16_e64 v233, 0x36a6, v179
	v_add_f16_e64 v56, v237, v56
	v_fmac_f16_e64 v239, 0xbbeb, v181
	v_add_f16_e32 v59, v60, v59
	v_fma_f16 v60, v179, 0xb08e, -v240
	v_add_f16_e64 v61, v205, v61
	v_fmac_f16_e64 v190, 0xba0c, v181
	v_add_f16_e32 v52, v57, v52
	v_fma_f16 v57, v179, 0xb93d, -v207
	v_add_f16_e32 v64, v65, v64
	v_add_f16_e64 v51, v147, v51
	v_add_f16_e64 v53, v158, v53
	;; [unrolled: 1-line block ×4, first 2 shown]
	v_add_f16_e32 v68, v72, v68
	v_add_f16_e32 v67, v71, v67
	v_add_f16_e64 v219, v228, v219
	v_add_f16_e64 v222, v233, v222
	;; [unrolled: 1-line block ×3, first 2 shown]
	v_add_f16_e32 v59, v60, v59
	v_add_f16_e64 v60, v190, v61
	v_add_f16_e32 v52, v57, v52
	v_lshlrev_b32_e32 v57, 2, v99
	v_pack_b32_f16 v58, v58, v64
	v_pack_b32_f16 v51, v51, v53
	;; [unrolled: 1-line block ×9, first 2 shown]
	v_perm_b32 v59, v160, v54, 0x5040100
	v_perm_b32 v60, v164, v55, 0x5040100
	ds_store_2addr_b32 v57, v51, v58 offset1:1
	ds_store_2addr_b32 v57, v53, v61 offset0:2 offset1:3
	ds_store_2addr_b32 v57, v63, v62 offset0:4 offset1:5
	;; [unrolled: 1-line block ×4, first 2 shown]
	ds_store_b32 v57, v60 offset:40
.LBB0_17:
	s_wait_alu 0xfffe
	s_or_b32 exec_lo, exec_lo, s1
	v_add_nc_u32_e32 v51, 0x200, v75
	v_add_nc_u32_e32 v53, 0x800, v75
	;; [unrolled: 1-line block ×6, first 2 shown]
	global_wb scope:SCOPE_SE
	s_wait_dscnt 0x0
	s_barrier_signal -1
	s_barrier_wait -1
	global_inv scope:SCOPE_SE
	ds_load_2addr_b32 v[56:57], v75 offset1:55
	ds_load_2addr_b32 v[72:73], v51 offset0:103 offset1:158
	ds_load_2addr_b32 v[68:69], v52 offset0:78 offset1:133
	;; [unrolled: 1-line block ×9, first 2 shown]
	s_and_saveexec_b32 s1, s0
	s_cbranch_execz .LBB0_19
; %bb.18:
	v_add_nc_u32_e32 v33, 0x340, v75
	v_add_nc_u32_e32 v34, 0xa80, v75
	ds_load_2addr_b32 v[54:55], v33 offset0:12 offset1:243
	ds_load_2addr_b32 v[33:34], v34 offset0:10 offset1:241
	ds_load_b32 v105, v75 offset:4576
	s_wait_dscnt 0x2
	v_lshrrev_b32_e32 v160, 16, v54
	v_lshrrev_b32_e32 v164, 16, v55
	s_wait_dscnt 0x1
	v_lshrrev_b32_e32 v109, 16, v33
	v_lshrrev_b32_e32 v108, 16, v34
	s_wait_dscnt 0x0
	v_lshrrev_b32_e32 v107, 16, v105
.LBB0_19:
	s_wait_alu 0xfffe
	s_or_b32 exec_lo, exec_lo, s1
	s_wait_dscnt 0x8
	v_lshrrev_b32_e32 v147, 16, v72
	s_wait_dscnt 0x7
	v_lshrrev_b32_e32 v158, 16, v68
	;; [unrolled: 2-line block ×4, first 2 shown]
	v_lshrrev_b32_e32 v162, 16, v73
	v_mul_f16_e64 v173, v129, v147
	v_mul_f16_e64 v174, v127, v158
	v_lshrrev_b32_e32 v163, 16, v69
	v_lshrrev_b32_e32 v165, 16, v71
	v_mul_f16_e64 v129, v129, v72
	v_fmac_f16_e64 v173, v16, v72
	v_fmac_f16_e64 v174, v17, v68
	v_mul_f16_e32 v68, v127, v68
	v_mul_f16_e64 v72, v125, v159
	v_mul_f16_e64 v127, v123, v161
	v_lshrrev_b32_e32 v166, 16, v67
	s_wait_dscnt 0x3
	v_lshrrev_b32_e32 v167, 16, v64
	v_mul_f16_e32 v125, v125, v70
	v_mul_f16_e32 v123, v123, v66
	v_fma_f16 v17, v17, v158, -v68
	v_fmac_f16_e32 v72, v18, v70
	v_fmac_f16_e32 v127, v19, v66
	v_mul_f16_e64 v66, v121, v162
	v_mul_f16_e32 v68, v121, v73
	v_mul_f16_e64 v70, v119, v163
	v_mul_f16_e64 v121, v117, v165
	s_wait_dscnt 0x2
	v_lshrrev_b32_e32 v168, 16, v62
	s_wait_dscnt 0x1
	v_lshrrev_b32_e32 v169, 16, v60
	v_mul_f16_e32 v119, v119, v69
	v_fmac_f16_e32 v66, v12, v73
	v_fma_f16 v12, v12, v162, -v68
	v_fmac_f16_e32 v70, v13, v69
	v_fmac_f16_e32 v121, v14, v71
	v_mul_f16_e32 v68, v117, v71
	v_mul_f16_e64 v69, v116, v166
	v_mul_f16_e32 v71, v116, v67
	v_mul_f16_e64 v73, v128, v167
	s_wait_dscnt 0x0
	v_lshrrev_b32_e32 v170, 16, v58
	v_lshrrev_b32_e32 v171, 16, v65
	v_lshrrev_b32_e32 v172, 16, v63
	v_mul_f16_e64 v116, v128, v64
	v_fma_f16 v14, v14, v165, -v68
	v_fmac_f16_e32 v69, v15, v67
	v_fma_f16 v15, v15, v166, -v71
	v_fmac_f16_e32 v73, v8, v64
	v_mul_f16_e64 v64, v126, v168
	v_mul_f16_e32 v67, v126, v62
	v_mul_f16_e64 v68, v124, v169
	v_mul_f16_e32 v71, v124, v60
	v_lshrrev_b32_e32 v175, 16, v61
	v_fma_f16 v8, v8, v167, -v116
	v_mul_f16_e64 v116, v122, v170
	v_fmac_f16_e32 v64, v9, v62
	v_fma_f16 v9, v9, v168, -v67
	v_fmac_f16_e32 v68, v10, v60
	v_fma_f16 v10, v10, v169, -v71
	v_mul_f16_e64 v60, v120, v171
	v_mul_f16_e32 v62, v120, v65
	v_mul_f16_e64 v67, v118, v172
	v_mul_f16_e32 v71, v118, v63
	v_lshrrev_b32_e32 v176, 16, v59
	v_fmac_f16_e32 v116, v11, v58
	v_mul_f16_e32 v58, v122, v58
	v_fmac_f16_e32 v60, v4, v65
	v_fma_f16 v4, v4, v171, -v62
	v_fmac_f16_e32 v67, v5, v63
	v_fma_f16 v5, v5, v172, -v71
	v_mul_f16_e64 v62, v115, v175
	v_add_f16_e64 v71, v56, v173
	v_fma_f16 v16, v16, v147, -v129
	v_fma_f16 v18, v18, v159, -v125
	;; [unrolled: 1-line block ×5, first 2 shown]
	v_add_f16_e64 v58, v174, v72
	v_mul_f16_e32 v63, v115, v61
	v_mul_f16_e64 v65, v114, v176
	v_fmac_f16_e32 v62, v6, v61
	v_add_f16_e64 v61, v71, v174
	v_add_f16_e64 v119, v173, v127
	v_lshrrev_b32_e32 v100, 16, v56
	v_fma_f16 v58, -0.5, v58, v56
	v_sub_f16_e32 v115, v16, v19
	v_fmac_f16_e32 v65, v7, v59
	v_sub_f16_e32 v71, v17, v18
	v_sub_f16_e64 v117, v173, v174
	v_sub_f16_e32 v118, v127, v72
	v_mul_f16_e32 v59, v114, v59
	v_add_f16_e32 v61, v61, v72
	v_fma_f16 v56, -0.5, v119, v56
	v_fma_f16 v6, v6, v175, -v63
	v_fmamk_f16 v63, v115, 0xbb9c, v58
	v_add_f16_e32 v114, v117, v118
	v_fma_f16 v7, v7, v176, -v59
	v_add_f16_e32 v59, v61, v127
	v_fmac_f16_e32 v58, 0x3b9c, v115
	v_fmamk_f16 v61, v71, 0x3b9c, v56
	v_sub_f16_e64 v117, v174, v173
	v_sub_f16_e32 v118, v72, v127
	v_add_f16_e32 v119, v100, v16
	v_add_f16_e32 v120, v17, v18
	v_fmac_f16_e32 v56, 0xbb9c, v71
	v_fmac_f16_e32 v63, 0xb8b4, v71
	;; [unrolled: 1-line block ×4, first 2 shown]
	v_add_f16_e32 v117, v117, v118
	v_add_f16_e32 v71, v119, v17
	v_fma_f16 v118, -0.5, v120, v100
	v_sub_f16_e64 v119, v173, v127
	v_fmac_f16_e32 v56, 0x38b4, v115
	v_add_f16_e32 v115, v16, v19
	v_sub_f16_e32 v120, v16, v17
	v_sub_f16_e32 v16, v17, v16
	;; [unrolled: 1-line block ×3, first 2 shown]
	v_fmac_f16_e32 v63, 0x34f2, v114
	v_fmac_f16_e32 v58, 0x34f2, v114
	v_add_f16_e32 v71, v71, v18
	v_fmamk_f16 v114, v119, 0x3b9c, v118
	v_sub_f16_e64 v72, v174, v72
	v_sub_f16_e32 v122, v19, v18
	v_fmac_f16_e32 v100, -0.5, v115
	v_fmac_f16_e32 v118, 0xbb9c, v119
	v_add_f16_e32 v18, v70, v121
	v_add_f16_e32 v16, v16, v17
	;; [unrolled: 1-line block ×3, first 2 shown]
	v_lshrrev_b32_e32 v99, 16, v57
	v_fmac_f16_e32 v61, 0x34f2, v117
	v_fmac_f16_e32 v56, 0x34f2, v117
	v_add_f16_e32 v71, v71, v19
	v_fmac_f16_e32 v114, 0x38b4, v72
	v_add_f16_e32 v115, v120, v122
	v_fmamk_f16 v117, v72, 0xbb9c, v100
	v_fmac_f16_e32 v118, 0xb8b4, v72
	v_fma_f16 v18, -0.5, v18, v57
	v_sub_f16_e32 v19, v12, v15
	v_fmac_f16_e32 v100, 0x3b9c, v72
	v_add_f16_e32 v17, v17, v70
	v_add_f16_e32 v123, v66, v69
	v_fmac_f16_e32 v114, 0x34f2, v115
	v_fmac_f16_e32 v117, 0x38b4, v119
	;; [unrolled: 1-line block ×3, first 2 shown]
	v_fmamk_f16 v72, v19, 0xbb9c, v18
	v_sub_f16_e32 v115, v13, v14
	v_sub_f16_e32 v120, v66, v70
	;; [unrolled: 1-line block ×3, first 2 shown]
	v_fmac_f16_e32 v100, 0xb8b4, v119
	v_add_f16_e32 v17, v17, v121
	v_fmac_f16_e32 v57, -0.5, v123
	v_fmac_f16_e32 v18, 0x3b9c, v19
	v_add_f16_e32 v123, v99, v12
	v_fmac_f16_e32 v117, 0x34f2, v16
	v_fmac_f16_e32 v72, 0xb8b4, v115
	v_add_f16_e32 v119, v120, v122
	v_fmac_f16_e32 v100, 0x34f2, v16
	v_add_f16_e32 v16, v17, v69
	v_fmamk_f16 v17, v115, 0x3b9c, v57
	v_sub_f16_e32 v120, v70, v66
	v_sub_f16_e32 v122, v121, v69
	v_fmac_f16_e32 v18, 0x38b4, v115
	v_add_f16_e32 v124, v13, v14
	v_fmac_f16_e32 v57, 0xbb9c, v115
	v_add_f16_e32 v115, v123, v13
	v_fmac_f16_e32 v72, 0x34f2, v119
	v_fmac_f16_e32 v17, 0xb8b4, v19
	v_add_f16_e32 v120, v120, v122
	v_fma_f16 v122, -0.5, v124, v99
	v_sub_f16_e32 v66, v66, v69
	v_fmac_f16_e32 v18, 0x34f2, v119
	v_fmac_f16_e32 v57, 0x38b4, v19
	v_add_f16_e32 v19, v115, v14
	v_add_f16_e32 v115, v12, v15
	v_sub_f16_e32 v119, v12, v13
	v_sub_f16_e32 v12, v13, v12
	;; [unrolled: 1-line block ×3, first 2 shown]
	v_fmamk_f16 v69, v66, 0x3b9c, v122
	v_sub_f16_e32 v70, v70, v121
	v_sub_f16_e32 v121, v15, v14
	v_fmac_f16_e32 v99, -0.5, v115
	v_fmac_f16_e32 v122, 0xbb9c, v66
	v_add_f16_e32 v14, v64, v68
	v_add_f16_e32 v12, v12, v13
	;; [unrolled: 1-line block ×3, first 2 shown]
	v_lshrrev_b32_e32 v74, 16, v51
	v_add_f16_e32 v19, v19, v15
	v_fmac_f16_e32 v69, 0x38b4, v70
	v_add_f16_e32 v115, v119, v121
	v_fmamk_f16 v119, v70, 0xbb9c, v99
	v_fmac_f16_e32 v122, 0xb8b4, v70
	v_fma_f16 v14, -0.5, v14, v51
	v_sub_f16_e32 v15, v8, v11
	v_fmac_f16_e32 v99, 0x3b9c, v70
	v_add_f16_e32 v13, v13, v64
	v_add_f16_e32 v123, v73, v116
	v_fmac_f16_e32 v17, 0x34f2, v120
	v_fmac_f16_e32 v57, 0x34f2, v120
	;; [unrolled: 1-line block ×5, first 2 shown]
	v_fmamk_f16 v70, v15, 0xbb9c, v14
	v_sub_f16_e32 v115, v9, v10
	v_sub_f16_e32 v120, v73, v64
	;; [unrolled: 1-line block ×3, first 2 shown]
	v_fmac_f16_e32 v99, 0xb8b4, v66
	v_add_f16_e32 v13, v13, v68
	v_fma_f16 v51, -0.5, v123, v51
	v_fmac_f16_e32 v14, 0x3b9c, v15
	v_add_f16_e32 v123, v74, v8
	v_fmac_f16_e32 v119, 0x34f2, v12
	v_fmac_f16_e32 v70, 0xb8b4, v115
	v_add_f16_e32 v66, v120, v121
	v_fmac_f16_e32 v99, 0x34f2, v12
	v_add_f16_e32 v12, v13, v116
	v_fmamk_f16 v13, v115, 0x3b9c, v51
	v_sub_f16_e32 v120, v64, v73
	v_sub_f16_e32 v121, v68, v116
	v_fmac_f16_e32 v14, 0x38b4, v115
	v_add_f16_e32 v124, v9, v10
	v_fmac_f16_e32 v51, 0xbb9c, v115
	v_add_f16_e32 v115, v123, v9
	;; [unrolled: 2-line block ×3, first 2 shown]
	v_fma_f16 v121, -0.5, v124, v74
	v_sub_f16_e32 v73, v73, v116
	v_fmac_f16_e32 v51, 0x38b4, v15
	v_add_f16_e32 v15, v115, v10
	v_add_f16_e32 v115, v8, v11
	v_fmac_f16_e32 v70, 0x34f2, v66
	v_fmac_f16_e32 v14, 0x34f2, v66
	v_fmamk_f16 v66, v73, 0x3b9c, v121
	v_sub_f16_e32 v64, v64, v68
	v_sub_f16_e32 v68, v8, v9
	;; [unrolled: 1-line block ×3, first 2 shown]
	v_fmac_f16_e32 v74, -0.5, v115
	v_fmac_f16_e32 v121, 0xbb9c, v73
	v_sub_f16_e32 v8, v9, v8
	v_sub_f16_e32 v9, v10, v11
	v_add_f16_e32 v10, v67, v62
	v_add_f16_e32 v15, v15, v11
	v_fmac_f16_e32 v66, 0x38b4, v64
	v_add_f16_e32 v68, v68, v116
	v_fmamk_f16 v115, v64, 0xbb9c, v74
	v_fmac_f16_e32 v121, 0xb8b4, v64
	v_add_f16_e32 v8, v8, v9
	v_fmac_f16_e32 v74, 0x3b9c, v64
	v_add_f16_e32 v9, v52, v60
	v_fma_f16 v10, -0.5, v10, v52
	v_sub_f16_e32 v11, v4, v7
	v_fmac_f16_e32 v13, 0x34f2, v120
	v_fmac_f16_e32 v51, 0x34f2, v120
	;; [unrolled: 1-line block ×6, first 2 shown]
	v_add_f16_e32 v9, v9, v67
	v_fmamk_f16 v64, v11, 0xbb9c, v10
	v_sub_f16_e32 v68, v5, v6
	v_sub_f16_e32 v73, v60, v67
	;; [unrolled: 1-line block ×3, first 2 shown]
	v_fmac_f16_e32 v10, 0x3b9c, v11
	v_add_f16_e32 v120, v60, v65
	v_lshrrev_b32_e32 v53, 16, v52
	v_add_f16_e32 v9, v9, v62
	v_fmac_f16_e32 v64, 0xb8b4, v68
	v_add_f16_e32 v73, v73, v116
	v_fmac_f16_e32 v10, 0x38b4, v68
	v_fmac_f16_e32 v52, -0.5, v120
	v_sub_f16_e32 v116, v67, v60
	v_sub_f16_e32 v120, v62, v65
	v_fmac_f16_e32 v115, 0x34f2, v8
	v_fmac_f16_e32 v74, 0x34f2, v8
	v_add_f16_e32 v8, v9, v65
	v_fmac_f16_e32 v64, 0x34f2, v73
	v_fmac_f16_e32 v10, 0x34f2, v73
	v_fmamk_f16 v9, v68, 0x3b9c, v52
	v_add_f16_e32 v73, v5, v6
	v_fmac_f16_e32 v52, 0xbb9c, v68
	v_sub_f16_e32 v60, v60, v65
	v_add_f16_e32 v65, v116, v120
	v_add_f16_e32 v116, v4, v7
	;; [unrolled: 1-line block ×3, first 2 shown]
	v_fma_f16 v73, -0.5, v73, v53
	v_fmac_f16_e32 v9, 0xb8b4, v11
	v_fmac_f16_e32 v52, 0x38b4, v11
	v_sub_f16_e32 v62, v67, v62
	v_fmac_f16_e32 v53, -0.5, v116
	v_add_f16_e32 v11, v68, v5
	v_fmamk_f16 v68, v60, 0x3b9c, v73
	v_fmac_f16_e32 v9, 0x34f2, v65
	v_fmac_f16_e32 v52, 0x34f2, v65
	v_sub_f16_e32 v65, v4, v5
	v_sub_f16_e32 v67, v7, v6
	v_fmac_f16_e32 v73, 0xbb9c, v60
	v_fmamk_f16 v116, v62, 0xbb9c, v53
	v_sub_f16_e32 v4, v5, v4
	v_sub_f16_e32 v5, v6, v7
	v_fmac_f16_e32 v53, 0x3b9c, v62
	v_add_f16_e32 v11, v11, v6
	v_fmac_f16_e32 v68, 0x38b4, v62
	v_add_f16_e32 v6, v65, v67
	v_fmac_f16_e32 v73, 0xb8b4, v62
	v_fmac_f16_e32 v116, 0x38b4, v60
	v_add_f16_e32 v4, v4, v5
	v_fmac_f16_e32 v53, 0xb8b4, v60
	v_fmac_f16_e32 v68, 0x34f2, v6
	;; [unrolled: 1-line block ×3, first 2 shown]
	v_pack_b32_f16 v6, v63, v114
	v_fmac_f16_e32 v116, 0x34f2, v4
	v_fmac_f16_e32 v53, 0x34f2, v4
	v_pack_b32_f16 v4, v59, v71
	v_add_f16_e32 v5, v11, v7
	v_pack_b32_f16 v7, v61, v117
	v_pack_b32_f16 v11, v56, v100
	global_wb scope:SCOPE_SE
	s_barrier_signal -1
	s_barrier_wait -1
	global_inv scope:SCOPE_SE
	ds_store_2addr_b32 v110, v4, v6 offset1:11
	ds_store_2addr_b32 v110, v7, v11 offset0:22 offset1:33
	v_pack_b32_f16 v4, v58, v118
	v_pack_b32_f16 v6, v16, v19
	;; [unrolled: 1-line block ×8, first 2 shown]
	ds_store_b32 v110, v4 offset:176
	ds_store_2addr_b32 v111, v6, v7 offset1:11
	ds_store_2addr_b32 v111, v11, v16 offset0:22 offset1:33
	ds_store_b32 v111, v17 offset:176
	ds_store_2addr_b32 v112, v12, v15 offset1:11
	v_pack_b32_f16 v4, v13, v115
	v_pack_b32_f16 v6, v51, v74
	;; [unrolled: 1-line block ×8, first 2 shown]
	ds_store_2addr_b32 v112, v4, v6 offset0:22 offset1:33
	ds_store_b32 v112, v7 offset:176
	ds_store_2addr_b32 v113, v5, v8 offset1:11
	ds_store_2addr_b32 v113, v9, v11 offset0:22 offset1:33
	ds_store_b32 v113, v10 offset:176
	s_and_saveexec_b32 s1, s0
	s_cbranch_execz .LBB0_21
; %bb.20:
	v_mul_f16_e32 v4, v104, v55
	v_mul_f16_e32 v5, v102, v105
	;; [unrolled: 1-line block ×6, first 2 shown]
	v_fma_f16 v4, v0, v164, -v4
	v_fma_f16 v5, v3, v107, -v5
	;; [unrolled: 1-line block ×3, first 2 shown]
	v_fmac_f16_e32 v8, v2, v34
	v_mul_f16_e64 v10, v104, v164
	v_mul_f16_e32 v11, v102, v107
	v_fma_f16 v2, v2, v108, -v9
	v_fmac_f16_e32 v7, v1, v33
	v_add_f16_e32 v1, v4, v5
	v_fmac_f16_e32 v10, v0, v55
	v_fmac_f16_e32 v11, v3, v105
	v_sub_f16_e32 v0, v6, v4
	v_sub_f16_e32 v3, v2, v5
	v_add_f16_e32 v13, v6, v2
	v_sub_f16_e32 v9, v7, v8
	v_fma_f16 v1, -0.5, v1, v160
	v_sub_f16_e32 v14, v10, v11
	v_add_f16_e32 v0, v0, v3
	v_fma_f16 v3, -0.5, v13, v160
	v_sub_f16_e32 v13, v4, v6
	v_fmamk_f16 v12, v9, 0x3b9c, v1
	v_fmac_f16_e32 v1, 0xbb9c, v9
	v_sub_f16_e32 v15, v5, v2
	v_fmamk_f16 v16, v14, 0xbb9c, v3
	v_add_f16_e64 v17, v160, v4
	v_fmac_f16_e32 v3, 0x3b9c, v14
	v_fmac_f16_e32 v12, 0xb8b4, v14
	;; [unrolled: 1-line block ×3, first 2 shown]
	v_add_f16_e32 v13, v13, v15
	v_fmac_f16_e32 v16, 0xb8b4, v9
	v_add_f16_e32 v14, v17, v6
	v_fmac_f16_e32 v3, 0x38b4, v9
	v_fmac_f16_e32 v12, 0x34f2, v0
	;; [unrolled: 1-line block ×4, first 2 shown]
	v_add_f16_e32 v0, v14, v2
	v_fmac_f16_e32 v3, 0x34f2, v13
	v_sub_f16_e32 v13, v7, v10
	v_sub_f16_e32 v14, v8, v11
	v_add_f16_e32 v15, v7, v8
	v_add_f16_e32 v9, v10, v11
	;; [unrolled: 1-line block ×3, first 2 shown]
	v_sub_f16_e32 v2, v6, v2
	v_add_f16_e32 v6, v13, v14
	v_sub_f16_e32 v4, v4, v5
	v_fma_f16 v5, -0.5, v15, v54
	v_add_f16_e32 v13, v54, v10
	v_fma_f16 v9, -0.5, v9, v54
	v_sub_f16_e32 v10, v10, v7
	v_sub_f16_e32 v15, v11, v8
	v_fmamk_f16 v17, v4, 0x3b9c, v5
	v_add_f16_e32 v7, v13, v7
	v_fmac_f16_e32 v5, 0xbb9c, v4
	v_fmamk_f16 v14, v2, 0xbb9c, v9
	v_fmac_f16_e32 v9, 0x3b9c, v2
	v_add_f16_e32 v10, v10, v15
	v_add_f16_e32 v7, v7, v8
	v_fmac_f16_e32 v5, 0xb8b4, v2
	v_fmac_f16_e32 v14, 0x38b4, v4
	;; [unrolled: 1-line block ×4, first 2 shown]
	v_add_f16_e32 v2, v7, v11
	v_fmac_f16_e32 v5, 0x34f2, v10
	v_lshlrev_b32_e32 v4, 2, v106
	v_fmac_f16_e32 v14, 0x34f2, v6
	v_fmac_f16_e32 v9, 0x34f2, v6
	;; [unrolled: 1-line block ×3, first 2 shown]
	v_pack_b32_f16 v0, v2, v0
	v_pack_b32_f16 v2, v5, v3
	v_add_nc_u32_e32 v3, 0x1000, v4
	v_pack_b32_f16 v1, v9, v1
	v_pack_b32_f16 v5, v14, v12
	;; [unrolled: 1-line block ×3, first 2 shown]
	ds_store_2addr_b32 v3, v0, v2 offset0:76 offset1:87
	ds_store_2addr_b32 v3, v1, v5 offset0:98 offset1:109
	ds_store_b32 v4, v6 offset:4576
.LBB0_21:
	s_wait_alu 0xfffe
	s_or_b32 exec_lo, exec_lo, s1
	v_add_nc_u32_e32 v3, 0x400, v75
	global_wb scope:SCOPE_SE
	s_wait_dscnt 0x0
	s_barrier_signal -1
	s_barrier_wait -1
	global_inv scope:SCOPE_SE
	ds_load_2addr_b32 v[4:5], v75 offset1:55
	ds_load_2addr_b32 v[6:7], v75 offset0:110 offset1:165
	ds_load_2addr_b32 v[8:9], v3 offset0:74 offset1:129
	;; [unrolled: 1-line block ×3, first 2 shown]
	v_add_nc_u32_e32 v0, 0x800, v75
	v_add_nc_u32_e32 v2, 0xc00, v75
	;; [unrolled: 1-line block ×4, first 2 shown]
	ds_load_2addr_b32 v[12:13], v0 offset0:148 offset1:203
	ds_load_2addr_b32 v[14:15], v2 offset0:2 offset1:57
	;; [unrolled: 1-line block ×6, first 2 shown]
	ds_load_b32 v54, v75 offset:4400
	global_wb scope:SCOPE_SE
	s_wait_dscnt 0x0
	s_barrier_signal -1
	s_barrier_wait -1
	global_inv scope:SCOPE_SE
	s_mov_b32 s8, 0x33a4aea8
	s_mov_b32 s9, 0x3f4c5edd
	v_lshrrev_b32_e32 v55, 16, v4
	v_lshrrev_b32_e32 v56, 16, v7
	;; [unrolled: 1-line block ×6, first 2 shown]
	v_mul_f16_e64 v72, v136, v56
	v_lshrrev_b32_e32 v61, 16, v16
	v_mul_f16_e64 v101, v135, v57
	v_mul_f16_e64 v102, v135, v8
	;; [unrolled: 1-line block ×3, first 2 shown]
	v_fmac_f16_e32 v72, v20, v7
	v_mul_f16_e64 v7, v136, v7
	v_mul_f16_e64 v104, v134, v11
	v_lshrrev_b32_e32 v63, 16, v18
	v_lshrrev_b32_e32 v64, 16, v9
	v_fmac_f16_e32 v101, v21, v8
	v_fma_f16 v7, v20, v56, -v7
	v_fma_f16 v8, v21, v57, -v102
	v_fmac_f16_e32 v103, v22, v11
	v_fma_f16 v11, v22, v58, -v104
	v_mul_f16_e64 v56, v133, v59
	v_mul_f16_e64 v57, v133, v12
	;; [unrolled: 1-line block ×5, first 2 shown]
	v_lshrrev_b32_e32 v65, 16, v33
	v_lshrrev_b32_e32 v66, 16, v13
	;; [unrolled: 1-line block ×3, first 2 shown]
	v_fmac_f16_e32 v56, v23, v12
	v_fma_f16 v12, v23, v59, -v57
	v_fmac_f16_e32 v58, v31, v15
	v_fma_f16 v15, v31, v60, -v102
	v_fmac_f16_e32 v104, v32, v16
	v_mul_f16_e64 v16, v131, v16
	v_mul_f16_e64 v57, v136, v63
	;; [unrolled: 1-line block ×5, first 2 shown]
	v_lshrrev_b32_e32 v68, 16, v17
	v_lshrrev_b32_e32 v70, 16, v19
	v_fma_f16 v16, v32, v61, -v16
	v_fmac_f16_e32 v57, v20, v18
	v_fma_f16 v18, v20, v63, -v59
	v_fmac_f16_e32 v60, v21, v9
	v_fma_f16 v9, v21, v64, -v102
	v_mul_f16_e64 v20, v134, v65
	v_mul_f16_e64 v21, v134, v33
	;; [unrolled: 1-line block ×5, first 2 shown]
	v_lshrrev_b32_e32 v71, 16, v10
	v_lshrrev_b32_e32 v73, 16, v34
	v_lshrrev_b32_e32 v74, 16, v14
	v_fmac_f16_e32 v20, v22, v33
	v_fma_f16 v21, v22, v65, -v21
	v_fmac_f16_e32 v59, v23, v13
	v_fma_f16 v13, v23, v66, -v61
	v_fmac_f16_e32 v63, v31, v51
	v_mul_f16_e64 v22, v132, v51
	v_mul_f16_e64 v23, v131, v68
	;; [unrolled: 1-line block ×5, first 2 shown]
	v_lshrrev_b32_e32 v99, 16, v52
	v_fma_f16 v22, v31, v67, -v22
	v_fmac_f16_e32 v23, v32, v17
	v_fma_f16 v17, v32, v68, -v33
	v_fmac_f16_e32 v51, v24, v19
	v_fma_f16 v19, v24, v70, -v61
	v_mul_f16_e64 v24, v141, v71
	v_mul_f16_e64 v31, v141, v10
	;; [unrolled: 1-line block ×5, first 2 shown]
	v_lshrrev_b32_e32 v100, 16, v54
	v_fmac_f16_e32 v24, v25, v10
	v_fma_f16 v10, v25, v71, -v31
	v_fmac_f16_e32 v32, v26, v34
	v_fma_f16 v25, v26, v73, -v33
	v_fmac_f16_e32 v61, v27, v14
	v_mul_f16_e64 v14, v139, v14
	v_mul_f16_e64 v26, v138, v99
	;; [unrolled: 1-line block ×5, first 2 shown]
	v_fma_f16 v14, v27, v74, -v14
	v_fmac_f16_e32 v26, v35, v52
	v_fma_f16 v27, v35, v99, -v31
	v_fma_f16 v31, v36, v100, -v34
	v_add_f16_e32 v34, v72, v104
	v_add_f16_e32 v35, v7, v16
	v_sub_f16_e32 v7, v7, v16
	v_add_f16_e32 v16, v101, v58
	v_add_f16_e32 v52, v8, v15
	v_fmac_f16_e32 v33, v36, v54
	v_sub_f16_e32 v36, v72, v104
	v_sub_f16_e32 v54, v101, v58
	;; [unrolled: 1-line block ×3, first 2 shown]
	v_add_f16_e32 v15, v103, v56
	v_add_f16_e32 v58, v11, v12
	v_sub_f16_e32 v56, v56, v103
	v_sub_f16_e32 v11, v12, v11
	v_add_f16_e32 v12, v16, v34
	v_add_f16_e32 v64, v52, v35
	v_sub_f16_e32 v65, v16, v34
	v_sub_f16_e32 v66, v52, v35
	;; [unrolled: 1-line block ×6, first 2 shown]
	v_add_f16_e32 v67, v56, v54
	v_add_f16_e32 v68, v11, v8
	v_sub_f16_e32 v70, v56, v54
	v_sub_f16_e32 v71, v11, v8
	v_sub_f16_e32 v54, v54, v36
	v_add_f16_e32 v12, v15, v12
	v_add_f16_e32 v15, v58, v64
	v_sub_f16_e32 v8, v8, v7
	v_sub_f16_e32 v56, v36, v56
	;; [unrolled: 1-line block ×3, first 2 shown]
	v_add_f16_e32 v36, v67, v36
	v_add_f16_e32 v7, v68, v7
	;; [unrolled: 1-line block ×4, first 2 shown]
	v_mul_f16_e32 v34, 0x3a52, v34
	v_mul_f16_e32 v35, 0x3a52, v35
	;; [unrolled: 1-line block ×8, first 2 shown]
	v_fmamk_f16 v12, v12, 0xbcab, v4
	v_fmamk_f16 v15, v15, 0xbcab, v55
	;; [unrolled: 1-line block ×4, first 2 shown]
	v_fma_f16 v58, v65, 0x39e0, -v58
	v_fma_f16 v64, v66, 0x39e0, -v64
	;; [unrolled: 1-line block ×4, first 2 shown]
	v_fmamk_f16 v65, v56, 0xb574, v67
	v_fmamk_f16 v66, v11, 0xb574, v68
	v_fma_f16 v56, v56, 0x3574, -v70
	v_fma_f16 v11, v11, 0x3574, -v71
	;; [unrolled: 1-line block ×4, first 2 shown]
	v_add_f16_e32 v16, v16, v12
	v_add_f16_e32 v52, v52, v15
	;; [unrolled: 1-line block ×6, first 2 shown]
	v_fmac_f16_e32 v65, 0xb70e, v36
	v_fmac_f16_e32 v66, 0xb70e, v7
	;; [unrolled: 1-line block ×6, first 2 shown]
	v_add_f16_e32 v7, v66, v16
	v_sub_f16_e32 v34, v52, v65
	v_add_f16_e32 v35, v11, v12
	v_sub_f16_e32 v36, v15, v56
	v_sub_f16_e32 v11, v12, v11
	v_add_f16_e32 v12, v56, v15
	v_sub_f16_e32 v15, v16, v66
	v_add_f16_e32 v16, v65, v52
	v_add_f16_e32 v52, v57, v23
	;; [unrolled: 1-line block ×3, first 2 shown]
	v_sub_f16_e32 v23, v57, v23
	v_sub_f16_e32 v17, v18, v17
	v_add_f16_e32 v18, v60, v63
	v_add_f16_e32 v57, v9, v22
	v_sub_f16_e32 v67, v58, v8
	v_add_f16_e32 v8, v8, v58
	v_sub_f16_e32 v58, v60, v63
	v_sub_f16_e32 v9, v9, v22
	v_add_f16_e32 v22, v20, v59
	v_add_f16_e32 v60, v21, v13
	v_sub_f16_e32 v20, v59, v20
	v_sub_f16_e32 v13, v13, v21
	v_add_f16_e32 v21, v18, v52
	v_add_f16_e32 v59, v57, v56
	v_lshrrev_b32_e32 v62, 16, v5
	v_add_f16_e32 v68, v54, v64
	v_sub_f16_e32 v54, v64, v54
	v_sub_f16_e32 v63, v18, v52
	;; [unrolled: 1-line block ×7, first 2 shown]
	v_add_f16_e32 v65, v20, v58
	v_add_f16_e32 v66, v13, v9
	v_sub_f16_e32 v70, v20, v58
	v_sub_f16_e32 v71, v13, v9
	;; [unrolled: 1-line block ×3, first 2 shown]
	v_add_f16_e32 v21, v22, v21
	v_add_f16_e32 v22, v60, v59
	v_sub_f16_e32 v9, v9, v17
	v_sub_f16_e32 v20, v23, v20
	;; [unrolled: 1-line block ×3, first 2 shown]
	v_add_f16_e32 v23, v65, v23
	v_add_f16_e32 v17, v66, v17
	;; [unrolled: 1-line block ×4, first 2 shown]
	v_mul_f16_e32 v52, 0x3a52, v52
	v_mul_f16_e32 v56, 0x3a52, v56
	;; [unrolled: 1-line block ×8, first 2 shown]
	v_fmamk_f16 v21, v21, 0xbcab, v5
	v_fmamk_f16 v22, v22, 0xbcab, v59
	;; [unrolled: 1-line block ×4, first 2 shown]
	v_fma_f16 v60, v63, 0x39e0, -v60
	v_fma_f16 v62, v64, 0x39e0, -v62
	;; [unrolled: 1-line block ×4, first 2 shown]
	v_fmamk_f16 v63, v20, 0xb574, v65
	v_fmamk_f16 v64, v13, 0xb574, v66
	v_fma_f16 v20, v20, 0x3574, -v70
	v_fma_f16 v13, v13, 0x3574, -v71
	;; [unrolled: 1-line block ×4, first 2 shown]
	v_add_f16_e32 v18, v18, v21
	v_add_f16_e32 v57, v57, v22
	;; [unrolled: 1-line block ×6, first 2 shown]
	v_fmac_f16_e32 v63, 0xb70e, v23
	v_fmac_f16_e32 v13, 0xb70e, v17
	;; [unrolled: 1-line block ×5, first 2 shown]
	v_sub_f16_e32 v23, v57, v63
	v_add_f16_e32 v52, v13, v21
	v_sub_f16_e32 v56, v22, v20
	v_sub_f16_e32 v13, v21, v13
	v_add_f16_e32 v20, v20, v22
	v_add_f16_e32 v21, v63, v57
	;; [unrolled: 1-line block ×4, first 2 shown]
	v_sub_f16_e32 v33, v51, v33
	v_sub_f16_e32 v19, v19, v31
	v_add_f16_e32 v31, v24, v26
	v_add_f16_e32 v51, v10, v27
	v_fmac_f16_e32 v64, 0xb70e, v17
	v_sub_f16_e32 v65, v60, v9
	v_add_f16_e32 v9, v9, v60
	v_sub_f16_e32 v24, v24, v26
	v_sub_f16_e32 v10, v10, v27
	v_add_f16_e32 v26, v32, v61
	v_add_f16_e32 v27, v25, v14
	v_sub_f16_e32 v32, v61, v32
	v_sub_f16_e32 v14, v14, v25
	v_add_f16_e32 v25, v31, v22
	v_add_f16_e32 v60, v51, v57
	v_lshrrev_b32_e32 v69, 16, v6
	v_add_f16_e32 v17, v64, v18
	v_add_f16_e32 v66, v58, v62
	v_sub_f16_e32 v58, v62, v58
	v_sub_f16_e32 v18, v18, v64
	;; [unrolled: 1-line block ×8, first 2 shown]
	v_add_f16_e32 v63, v32, v24
	v_add_f16_e32 v64, v14, v10
	v_sub_f16_e32 v70, v32, v24
	v_sub_f16_e32 v71, v14, v10
	v_add_f16_e32 v25, v26, v25
	v_add_f16_e32 v26, v27, v60
	v_sub_f16_e32 v24, v24, v33
	v_sub_f16_e32 v10, v10, v19
	;; [unrolled: 1-line block ×4, first 2 shown]
	v_add_f16_e32 v27, v63, v33
	v_add_f16_e32 v19, v64, v19
	;; [unrolled: 1-line block ×4, first 2 shown]
	v_mul_f16_e32 v22, 0x3a52, v22
	v_mul_f16_e32 v57, 0x3a52, v57
	;; [unrolled: 1-line block ×8, first 2 shown]
	v_fmamk_f16 v25, v25, 0xbcab, v6
	v_fmamk_f16 v26, v26, 0xbcab, v33
	;; [unrolled: 1-line block ×4, first 2 shown]
	v_fma_f16 v60, v61, 0x39e0, -v60
	v_fma_f16 v63, v62, 0x39e0, -v63
	;; [unrolled: 1-line block ×4, first 2 shown]
	v_fmamk_f16 v61, v32, 0xb574, v64
	v_fmamk_f16 v62, v14, 0xb574, v69
	v_fma_f16 v24, v24, 0xbb00, -v64
	v_fma_f16 v10, v10, 0xbb00, -v69
	;; [unrolled: 1-line block ×4, first 2 shown]
	v_pack_b32_f16 v4, v4, v55
	v_pack_b32_f16 v7, v7, v34
	v_add_f16_e32 v31, v31, v25
	v_add_f16_e32 v51, v51, v26
	v_fmac_f16_e32 v61, 0xb70e, v27
	v_fmac_f16_e32 v62, 0xb70e, v19
	v_add_f16_e32 v60, v60, v25
	v_add_f16_e32 v63, v63, v26
	;; [unrolled: 1-line block ×4, first 2 shown]
	v_fmac_f16_e32 v24, 0xb70e, v27
	v_fmac_f16_e32 v14, 0xb70e, v19
	;; [unrolled: 1-line block ×4, first 2 shown]
	ds_store_2addr_b32 v75, v4, v7 offset1:55
	v_pack_b32_f16 v4, v35, v36
	v_pack_b32_f16 v7, v67, v68
	v_add_f16_e32 v19, v62, v31
	v_sub_f16_e32 v26, v51, v61
	v_pack_b32_f16 v8, v8, v54
	v_pack_b32_f16 v11, v11, v12
	v_add_f16_e32 v27, v14, v22
	v_sub_f16_e32 v57, v25, v32
	v_sub_f16_e32 v64, v60, v10
	v_add_f16_e32 v69, v24, v63
	v_pack_b32_f16 v12, v15, v16
	v_pack_b32_f16 v5, v5, v59
	v_add_f16_e32 v10, v10, v60
	v_sub_f16_e32 v24, v63, v24
	v_sub_f16_e32 v14, v22, v14
	v_add_f16_e32 v22, v32, v25
	v_pack_b32_f16 v15, v17, v23
	v_pack_b32_f16 v16, v52, v56
	v_sub_f16_e32 v25, v31, v62
	v_add_f16_e32 v31, v61, v51
	v_pack_b32_f16 v17, v65, v66
	v_pack_b32_f16 v9, v9, v58
	ds_store_2addr_b32 v75, v4, v7 offset0:110 offset1:165
	ds_store_2addr_b32 v1, v8, v11 offset0:92 offset1:147
	;; [unrolled: 1-line block ×5, first 2 shown]
	v_pack_b32_f16 v4, v13, v20
	v_pack_b32_f16 v5, v18, v21
	;; [unrolled: 1-line block ×4, first 2 shown]
	v_add_nc_u32_e32 v8, 0xc00, v130
	v_pack_b32_f16 v9, v27, v57
	v_pack_b32_f16 v11, v64, v69
	;; [unrolled: 1-line block ×4, first 2 shown]
	v_add_nc_u32_e32 v13, 0xe00, v130
	v_pack_b32_f16 v14, v25, v31
	ds_store_2addr_b32 v0, v4, v5 offset0:148 offset1:203
	ds_store_2addr_b32 v8, v6, v7 offset0:2 offset1:57
	;; [unrolled: 1-line block ×4, first 2 shown]
	ds_store_b32 v130, v14 offset:4400
	global_wb scope:SCOPE_SE
	s_wait_dscnt 0x0
	s_barrier_signal -1
	s_barrier_wait -1
	global_inv scope:SCOPE_SE
	ds_load_2addr_b32 v[4:5], v75 offset1:55
	ds_load_2addr_b32 v[6:7], v3 offset0:74 offset1:129
	ds_load_2addr_b32 v[8:9], v2 offset0:2 offset1:57
	;; [unrolled: 1-line block ×9, first 2 shown]
	ds_load_b32 v27, v75 offset:4400
	s_wait_dscnt 0xa
	v_lshrrev_b32_e32 v24, 16, v4
	s_wait_dscnt 0x9
	v_lshrrev_b32_e32 v25, 16, v7
	s_wait_dscnt 0x8
	v_lshrrev_b32_e32 v26, 16, v8
	s_wait_dscnt 0x7
	v_lshrrev_b32_e32 v32, 16, v10
	v_lshrrev_b32_e32 v33, 16, v9
	v_lshrrev_b32_e32 v35, 16, v11
	v_mul_f16_e64 v61, v157, v25
	v_mul_f16_e64 v65, v156, v26
	;; [unrolled: 1-line block ×3, first 2 shown]
	s_wait_dscnt 0x5
	v_lshrrev_b32_e32 v36, 16, v14
	s_wait_dscnt 0x4
	v_lshrrev_b32_e32 v52, 16, v16
	v_fmac_f16_e32 v61, v41, v7
	v_mul_f16_e64 v7, v156, v8
	v_fmac_f16_e32 v65, v42, v8
	v_mul_f16_e64 v8, v155, v10
	v_fma_f16 v25, v41, v25, -v63
	v_mul_f16_e64 v41, v155, v32
	v_fma_f16 v7, v42, v26, -v7
	;; [unrolled: 2-line block ×3, first 2 shown]
	v_mul_f16_e64 v32, v153, v35
	v_lshrrev_b32_e32 v53, 16, v15
	v_lshrrev_b32_e32 v55, 16, v17
	s_wait_dscnt 0x2
	v_lshrrev_b32_e32 v56, 16, v20
	v_fmac_f16_e32 v41, v37, v10
	v_mul_f16_e64 v10, v154, v9
	v_fmac_f16_e32 v26, v38, v9
	v_mul_f16_e64 v9, v153, v11
	;; [unrolled: 2-line block ×3, first 2 shown]
	s_wait_dscnt 0x1
	v_lshrrev_b32_e32 v58, 16, v22
	v_fma_f16 v10, v38, v33, -v10
	v_mul_f16_e64 v33, v152, v36
	v_fma_f16 v9, v45, v35, -v9
	v_mul_f16_e64 v35, v151, v52
	;; [unrolled: 2-line block ×3, first 2 shown]
	v_mul_f16_e64 v37, v149, v55
	v_mul_f16_e64 v38, v148, v56
	v_lshrrev_b32_e32 v59, 16, v21
	v_lshrrev_b32_e32 v62, 16, v23
	v_fmac_f16_e32 v33, v46, v14
	v_mul_f16_e64 v14, v151, v16
	v_fmac_f16_e32 v35, v47, v16
	v_mul_f16_e64 v16, v150, v15
	;; [unrolled: 2-line block ×4, first 2 shown]
	v_mul_f16_e64 v42, v146, v58
	v_fmac_f16_e32 v38, v50, v20
	v_mul_f16_e64 v20, v146, v22
	s_wait_dscnt 0x0
	v_lshrrev_b32_e32 v64, 16, v27
	v_mul_f16_e64 v45, v145, v59
	v_fmac_f16_e32 v42, v43, v22
	v_mul_f16_e64 v22, v145, v21
	v_fma_f16 v20, v43, v58, -v20
	v_mul_f16_e64 v43, v144, v62
	v_fmac_f16_e32 v45, v44, v21
	v_mul_f16_e64 v21, v144, v23
	v_fma_f16 v22, v44, v59, -v22
	v_mul_f16_e64 v44, v143, v64
	v_fmac_f16_e32 v43, v39, v23
	v_mul_f16_e64 v23, v143, v27
	v_fma_f16 v21, v39, v62, -v21
	v_add_f16_e32 v39, v61, v65
	v_fmac_f16_e32 v44, v40, v27
	v_add_f16_e32 v27, v4, v61
	v_fma_f16 v23, v40, v64, -v23
	v_add_f16_e32 v40, v25, v7
	v_fma_f16 v4, -0.5, v39, v4
	v_sub_f16_e32 v39, v25, v7
	v_add_f16_e32 v25, v24, v25
	v_lshrrev_b32_e32 v31, 16, v5
	v_fmac_f16_e32 v24, -0.5, v40
	v_sub_f16_e32 v40, v61, v65
	v_fma_f16 v14, v47, v52, -v14
	v_fmamk_f16 v46, v39, 0xbaee, v4
	v_fmac_f16_e32 v4, 0x3aee, v39
	v_add_f16_e32 v7, v25, v7
	v_add_f16_e32 v25, v41, v26
	v_fmamk_f16 v39, v40, 0x3aee, v24
	v_add_f16_e32 v47, v5, v41
	v_fmac_f16_e32 v24, 0xbaee, v40
	v_add_f16_e32 v40, v8, v10
	v_fmac_f16_e32 v5, -0.5, v25
	v_sub_f16_e32 v25, v8, v10
	v_add_f16_e32 v47, v47, v26
	v_add_f16_e32 v8, v31, v8
	v_fmac_f16_e32 v31, -0.5, v40
	v_sub_f16_e32 v26, v41, v26
	v_lshrrev_b32_e32 v34, 16, v12
	v_fmamk_f16 v40, v25, 0xbaee, v5
	v_fmac_f16_e32 v5, 0x3aee, v25
	v_add_f16_e32 v8, v8, v10
	v_add_f16_e32 v10, v32, v33
	v_fmamk_f16 v25, v26, 0x3aee, v31
	v_fmac_f16_e32 v31, 0xbaee, v26
	v_add_f16_e32 v26, v9, v11
	v_fma_f16 v16, v48, v53, -v16
	v_add_f16_e32 v41, v12, v32
	v_fma_f16 v10, -0.5, v10, v12
	v_sub_f16_e32 v12, v9, v11
	v_add_f16_e32 v9, v34, v9
	v_fmac_f16_e32 v34, -0.5, v26
	v_sub_f16_e32 v26, v32, v33
	v_lshrrev_b32_e32 v51, 16, v13
	v_fmamk_f16 v32, v12, 0xbaee, v10
	v_fmac_f16_e32 v10, 0x3aee, v12
	v_add_f16_e32 v9, v9, v11
	v_add_f16_e32 v11, v35, v36
	v_fmamk_f16 v12, v26, 0x3aee, v34
	v_fmac_f16_e32 v34, 0xbaee, v26
	v_add_f16_e32 v26, v14, v16
	v_fma_f16 v15, v49, v55, -v15
	v_fma_f16 v17, v50, v56, -v17
	v_add_f16_e32 v41, v41, v33
	v_add_f16_e32 v33, v13, v35
	v_fmac_f16_e32 v13, -0.5, v11
	v_sub_f16_e32 v11, v14, v16
	v_add_f16_e32 v14, v51, v14
	v_fmac_f16_e32 v51, -0.5, v26
	v_sub_f16_e32 v26, v35, v36
	v_lshrrev_b32_e32 v54, 16, v18
	v_fmamk_f16 v35, v11, 0xbaee, v13
	v_fmac_f16_e32 v13, 0x3aee, v11
	v_add_f16_e32 v11, v14, v16
	v_add_f16_e32 v14, v37, v38
	v_fmamk_f16 v16, v26, 0x3aee, v51
	v_fmac_f16_e32 v51, 0xbaee, v26
	v_add_f16_e32 v26, v15, v17
	v_add_f16_e32 v33, v33, v36
	;; [unrolled: 1-line block ×3, first 2 shown]
	v_fma_f16 v14, -0.5, v14, v18
	v_sub_f16_e32 v18, v15, v17
	v_add_f16_e32 v15, v54, v15
	v_fmac_f16_e32 v54, -0.5, v26
	v_sub_f16_e32 v26, v37, v38
	v_lshrrev_b32_e32 v57, 16, v19
	v_add_f16_e32 v36, v36, v38
	v_fmamk_f16 v37, v18, 0xbaee, v14
	v_fmac_f16_e32 v14, 0x3aee, v18
	v_add_f16_e32 v15, v15, v17
	v_add_f16_e32 v17, v42, v45
	v_fmamk_f16 v18, v26, 0x3aee, v54
	v_add_f16_e32 v38, v19, v42
	v_fmac_f16_e32 v54, 0xbaee, v26
	v_add_f16_e32 v26, v20, v22
	v_lshrrev_b32_e32 v60, 16, v6
	v_fmac_f16_e32 v19, -0.5, v17
	v_sub_f16_e32 v17, v20, v22
	v_add_f16_e32 v38, v38, v45
	v_add_f16_e32 v20, v57, v20
	v_fmac_f16_e32 v57, -0.5, v26
	v_sub_f16_e32 v26, v42, v45
	v_add_f16_e32 v45, v43, v44
	v_fmamk_f16 v42, v17, 0xbaee, v19
	v_fmac_f16_e32 v19, 0x3aee, v17
	v_add_f16_e32 v17, v20, v22
	v_fmamk_f16 v20, v26, 0x3aee, v57
	v_add_f16_e32 v22, v6, v43
	v_fmac_f16_e32 v6, -0.5, v45
	v_sub_f16_e32 v45, v21, v23
	v_fmac_f16_e32 v57, 0xbaee, v26
	v_add_f16_e32 v26, v60, v21
	v_add_f16_e32 v21, v21, v23
	;; [unrolled: 1-line block ×3, first 2 shown]
	v_pack_b32_f16 v8, v47, v8
	v_pack_b32_f16 v25, v40, v25
	v_add_f16_e32 v23, v26, v23
	v_fmac_f16_e32 v60, -0.5, v21
	v_sub_f16_e32 v21, v43, v44
	v_pack_b32_f16 v7, v27, v7
	v_pack_b32_f16 v26, v46, v39
	;; [unrolled: 1-line block ×3, first 2 shown]
	ds_store_2addr_b32 v75, v7, v8 offset1:55
	ds_store_2addr_b32 v3, v26, v25 offset0:129 offset1:184
	v_fmamk_f16 v27, v21, 0x3aee, v60
	v_fmac_f16_e32 v60, 0xbaee, v21
	v_pack_b32_f16 v21, v4, v24
	v_pack_b32_f16 v7, v41, v9
	;; [unrolled: 1-line block ×6, first 2 shown]
	v_add_nc_u32_e32 v4, 0x600, v75
	ds_store_2addr_b32 v2, v21, v5 offset0:2 offset1:57
	ds_store_2addr_b32 v75, v7, v10 offset0:110 offset1:165
	v_pack_b32_f16 v5, v14, v54
	v_pack_b32_f16 v12, v13, v51
	v_add_f16_e32 v22, v22, v44
	v_fmamk_f16 v48, v45, 0xbaee, v6
	v_fmac_f16_e32 v6, 0x3aee, v45
	ds_store_2addr_b32 v4, v8, v11 offset0:111 offset1:166
	ds_store_2addr_b32 v2, v9, v12 offset0:112 offset1:167
	v_pack_b32_f16 v7, v36, v15
	ds_store_b32 v75, v5 offset:3960
	v_pack_b32_f16 v5, v38, v17
	v_pack_b32_f16 v8, v37, v18
	v_pack_b32_f16 v9, v42, v20
	v_pack_b32_f16 v11, v22, v23
	v_pack_b32_f16 v12, v48, v27
	v_pack_b32_f16 v10, v19, v57
	v_pack_b32_f16 v6, v6, v60
	v_add_nc_u32_e32 v13, 0x1000, v75
	ds_store_2addr_b32 v1, v7, v5 offset0:92 offset1:147
	ds_store_2addr_b32 v0, v8, v9 offset0:93 offset1:148
	ds_store_b32 v75, v11 offset:1320
	ds_store_b32 v75, v12 offset:2860
	ds_store_2addr_b32 v13, v10, v6 offset0:21 offset1:76
	global_wb scope:SCOPE_SE
	s_wait_dscnt 0x0
	s_barrier_signal -1
	s_barrier_wait -1
	global_inv scope:SCOPE_SE
	ds_load_2addr_b32 v[5:6], v75 offset1:105
	s_wait_dscnt 0x0
	v_lshrrev_b32_e32 v9, 16, v5
	s_delay_alu instid0(VALU_DEP_1) | instskip(NEXT) | instid1(VALU_DEP_1)
	v_mul_f16_e32 v7, v98, v9
	v_fmac_f16_e32 v7, v96, v5
	v_mul_f16_e32 v5, v98, v5
	s_delay_alu instid0(VALU_DEP_2) | instskip(NEXT) | instid1(VALU_DEP_2)
	v_cvt_f32_f16_e32 v7, v7
	v_fma_f16 v5, v96, v9, -v5
	s_delay_alu instid0(VALU_DEP_2) | instskip(NEXT) | instid1(VALU_DEP_2)
	v_cvt_f64_f32_e32 v[7:8], v7
	v_cvt_f32_f16_e32 v5, v5
	s_delay_alu instid0(VALU_DEP_1) | instskip(SKIP_1) | instid1(VALU_DEP_1)
	v_cvt_f64_f32_e32 v[9:10], v5
	v_lshrrev_b32_e32 v5, 16, v6
	v_mul_f16_e32 v11, v97, v5
	s_delay_alu instid0(VALU_DEP_1) | instskip(SKIP_1) | instid1(VALU_DEP_2)
	v_fmac_f16_e32 v11, v94, v6
	v_mul_f16_e32 v6, v97, v6
	v_cvt_f32_f16_e32 v11, v11
	s_delay_alu instid0(VALU_DEP_2) | instskip(NEXT) | instid1(VALU_DEP_1)
	v_fma_f16 v5, v94, v5, -v6
	v_cvt_f32_f16_e32 v5, v5
	s_wait_alu 0xfffe
	v_mul_f64_e32 v[7:8], s[8:9], v[7:8]
	v_mul_f64_e32 v[9:10], s[8:9], v[9:10]
	s_delay_alu instid0(VALU_DEP_2) | instskip(SKIP_3) | instid1(VALU_DEP_4)
	v_and_or_b32 v7, 0x1ff, v8, v7
	v_lshrrev_b32_e32 v12, 8, v8
	v_bfe_u32 v13, v8, 20, 11
	v_lshrrev_b32_e32 v24, 16, v8
	v_cmp_ne_u32_e64 s0, 0, v7
	v_and_or_b32 v9, 0x1ff, v10, v9
	s_delay_alu instid0(VALU_DEP_4)
	v_sub_nc_u32_e32 v14, 0x3f1, v13
	v_lshrrev_b32_e32 v17, 8, v10
	v_bfe_u32 v18, v10, 20, 11
	s_wait_alu 0xf1ff
	v_cndmask_b32_e64 v7, 0, 1, s0
	v_cmp_ne_u32_e64 s0, 0, v9
	v_med3_i32 v14, v14, 0, 13
	v_add_nc_u32_e32 v19, 0xfffffc10, v13
	v_sub_nc_u32_e32 v13, 0x3f1, v18
	v_and_or_b32 v7, 0xffe, v12, v7
	v_cvt_f64_f32_e32 v[11:12], v11
	s_wait_alu 0xf1ff
	v_cndmask_b32_e64 v9, 0, 1, s0
	v_add_nc_u32_e32 v21, 0xfffffc10, v18
	v_med3_i32 v13, v13, 0, 13
	v_or_b32_e32 v15, 0x1000, v7
	v_lshrrev_b32_e32 v10, 16, v10
	v_and_or_b32 v9, 0xffe, v17, v9
	s_delay_alu instid0(VALU_DEP_3) | instskip(NEXT) | instid1(VALU_DEP_2)
	v_lshrrev_b32_e32 v16, v14, v15
	v_lshl_or_b32 v18, v21, 12, v9
	s_delay_alu instid0(VALU_DEP_2) | instskip(NEXT) | instid1(VALU_DEP_1)
	v_lshlrev_b32_e32 v14, v14, v16
	v_cmp_ne_u32_e64 s0, v14, v15
	v_or_b32_e32 v15, 0x1000, v9
	s_wait_alu 0xf1ff
	s_delay_alu instid0(VALU_DEP_2) | instskip(SKIP_1) | instid1(VALU_DEP_3)
	v_cndmask_b32_e64 v14, 0, 1, s0
	v_cmp_gt_i32_e64 s0, 1, v19
	v_lshrrev_b32_e32 v20, v13, v15
	s_delay_alu instid0(VALU_DEP_3) | instskip(SKIP_1) | instid1(VALU_DEP_3)
	v_or_b32_e32 v6, v16, v14
	v_lshl_or_b32 v14, v19, 12, v7
	v_lshlrev_b32_e32 v16, v13, v20
	s_wait_alu 0xf1ff
	s_delay_alu instid0(VALU_DEP_2) | instskip(SKIP_1) | instid1(VALU_DEP_3)
	v_cndmask_b32_e64 v17, v14, v6, s0
	v_cvt_f64_f32_e32 v[5:6], v5
	v_cmp_ne_u32_e64 s2, v16, v15
	v_mul_f64_e32 v[11:12], s[8:9], v[11:12]
	v_mad_co_u64_u32 v[15:16], null, s6, v30, 0
	v_and_b32_e32 v14, 7, v17
	v_lshrrev_b32_e32 v17, 2, v17
	s_delay_alu instid0(VALU_DEP_2)
	v_cmp_lt_i32_e64 s0, 5, v14
	v_cmp_eq_u32_e64 s1, 3, v14
	ds_load_2addr_b32 v[13:14], v1 offset0:82 offset1:187
	s_wait_alu 0xf1ff
	v_cndmask_b32_e64 v1, 0, 1, s2
	s_or_b32 s0, s1, s0
	s_wait_alu 0xfffe
	v_add_co_ci_u32_e64 v17, s0, 0, v17, s0
	v_cmp_ne_u32_e64 s0, 0, v7
	v_or_b32_e32 v1, v20, v1
	s_wait_alu 0xf1ff
	s_delay_alu instid0(VALU_DEP_2) | instskip(SKIP_1) | instid1(VALU_DEP_2)
	v_cndmask_b32_e64 v7, 0, 1, s0
	v_cmp_gt_i32_e64 s0, 1, v21
	v_lshl_or_b32 v7, v7, 9, 0x7c00
	s_wait_alu 0xf1ff
	s_delay_alu instid0(VALU_DEP_2)
	v_cndmask_b32_e64 v18, v18, v1, s0
	v_cmp_gt_i32_e64 s0, 31, v19
	v_mov_b32_e32 v1, v16
	s_wait_dscnt 0x0
	v_lshrrev_b32_e32 v23, 16, v13
	v_and_b32_e32 v22, 7, v18
	s_wait_alu 0xf1ff
	v_cndmask_b32_e64 v20, 0x7c00, v17, s0
	v_cmp_eq_u32_e64 s0, 0x40f, v19
	v_mad_co_u64_u32 v[16:17], null, s7, v30, v[1:2]
	v_cmp_eq_u32_e64 s1, 3, v22
	v_mul_f64_e32 v[5:6], s[8:9], v[5:6]
	s_wait_alu 0xf1ff
	v_cndmask_b32_e64 v1, v20, v7, s0
	v_mul_f16_e32 v7, v95, v23
	v_cmp_lt_i32_e64 s0, 5, v22
	v_lshrrev_b32_e32 v17, 2, v18
	v_and_or_b32 v11, 0x1ff, v12, v11
	v_lshrrev_b32_e32 v20, 8, v12
	v_fmac_f16_e32 v7, v92, v13
	s_or_b32 s0, s1, s0
	v_bfe_u32 v22, v12, 20, 11
	s_wait_alu 0xfffe
	v_add_co_ci_u32_e64 v19, s0, 0, v17, s0
	v_cvt_f32_f16_e32 v7, v7
	v_cmp_ne_u32_e64 s0, 0, v11
	v_and_or_b32 v24, 0x8000, v24, v1
	v_lshlrev_b64_e32 v[15:16], 2, v[15:16]
	v_lshrrev_b32_e32 v12, 16, v12
	v_cvt_f64_f32_e32 v[17:18], v7
	s_wait_alu 0xf1ff
	v_cndmask_b32_e64 v11, 0, 1, s0
	v_cmp_ne_u32_e64 s0, 0, v9
	v_sub_nc_u32_e32 v9, 0x3f1, v22
	s_mul_u64 s[6:7], s[4:5], 0x69
	s_delay_alu instid0(VALU_DEP_3)
	v_and_or_b32 v11, 0xffe, v20, v11
	s_wait_alu 0xf1ff
	v_cndmask_b32_e64 v7, 0, 1, s0
	v_cmp_gt_i32_e64 s0, 31, v21
	v_med3_i32 v9, v9, 0, 13
	s_wait_alu 0xfffe
	s_lshl_b64 s[6:7], s[6:7], 2
	v_or_b32_e32 v20, 0x1000, v11
	v_lshl_or_b32 v7, v7, 9, 0x7c00
	v_cndmask_b32_e64 v19, 0x7c00, v19, s0
	v_cmp_eq_u32_e64 s0, 0x40f, v21
	s_delay_alu instid0(VALU_DEP_4) | instskip(SKIP_1) | instid1(VALU_DEP_2)
	v_lshrrev_b32_e32 v21, v9, v20
	s_wait_alu 0xf1ff
	v_cndmask_b32_e64 v19, v19, v7, s0
	v_mad_co_u64_u32 v[7:8], null, s4, v91, 0
	s_delay_alu instid0(VALU_DEP_3) | instskip(SKIP_1) | instid1(VALU_DEP_4)
	v_lshlrev_b32_e32 v9, v9, v21
	v_and_or_b32 v5, 0x1ff, v6, v5
	v_and_or_b32 v19, 0x8000, v10, v19
	v_mul_f16_e32 v10, v95, v13
	s_delay_alu instid0(VALU_DEP_4) | instskip(SKIP_2) | instid1(VALU_DEP_4)
	v_cmp_ne_u32_e64 s0, v9, v20
	v_mov_b32_e32 v1, v8
	v_lshrrev_b32_e32 v20, 8, v6
	v_fma_f16 v10, v92, v23, -v10
	v_and_b32_e32 v23, 0xffff, v24
	s_wait_alu 0xf1ff
	v_cndmask_b32_e64 v13, 0, 1, s0
	v_mad_co_u64_u32 v[8:9], null, s5, v91, v[1:2]
	v_cvt_f32_f16_e32 v9, v10
	v_cmp_ne_u32_e64 s0, 0, v5
	s_delay_alu instid0(VALU_DEP_4)
	v_or_b32_e32 v1, v21, v13
	v_add_nc_u32_e32 v13, 0xfffffc10, v22
	v_bfe_u32 v21, v6, 20, 11
	v_cvt_f64_f32_e32 v[9:10], v9
	s_wait_alu 0xf1ff
	v_cndmask_b32_e64 v5, 0, 1, s0
	v_mul_f64_e32 v[17:18], s[8:9], v[17:18]
	v_lshl_or_b32 v22, v13, 12, v11
	v_cmp_gt_i32_e64 s0, 1, v13
	v_lshl_or_b32 v19, v19, 16, v23
	v_and_or_b32 v5, 0xffe, v20, v5
	v_sub_nc_u32_e32 v20, 0x3f1, v21
	v_lshlrev_b64_e32 v[7:8], 2, v[7:8]
	s_wait_alu 0xf1ff
	v_cndmask_b32_e64 v1, v22, v1, s0
	v_add_co_u32 v25, s0, s10, v15
	v_or_b32_e32 v22, 0x1000, v5
	v_med3_i32 v20, v20, 0, 13
	s_delay_alu instid0(VALU_DEP_4)
	v_and_b32_e32 v23, 7, v1
	s_wait_alu 0xf1ff
	v_add_co_ci_u32_e64 v26, s0, s11, v16, s0
	v_lshrrev_b32_e32 v1, 2, v1
	v_lshrrev_b32_e32 v24, v20, v22
	v_cmp_lt_i32_e64 s0, 5, v23
	v_cmp_eq_u32_e64 s1, 3, v23
	s_delay_alu instid0(VALU_DEP_3) | instskip(SKIP_1) | instid1(VALU_DEP_3)
	v_lshlrev_b32_e32 v15, v20, v24
	v_add_nc_u32_e32 v20, 0xfffffc10, v21
	s_or_b32 s0, s1, s0
	v_lshrrev_b32_e32 v21, 16, v14
	s_wait_alu 0xfffe
	v_add_co_ci_u32_e64 v1, s0, 0, v1, s0
	v_cmp_ne_u32_e64 s2, v15, v22
	v_cmp_ne_u32_e64 s0, 0, v11
	v_lshl_or_b32 v16, v20, 12, v5
	v_mul_f16_e32 v22, v93, v21
	s_wait_alu 0xf1ff
	v_cndmask_b32_e64 v15, 0, 1, s2
	v_cndmask_b32_e64 v11, 0, 1, s0
	v_cmp_gt_i32_e64 s0, 1, v20
	v_fmac_f16_e32 v22, v90, v14
	v_mul_f64_e32 v[9:10], s[8:9], v[9:10]
	v_or_b32_e32 v15, v24, v15
	v_lshl_or_b32 v11, v11, 9, 0x7c00
	v_cmp_eq_u32_e64 s2, 0x40f, v13
	v_lshrrev_b32_e32 v24, 8, v18
	v_bfe_u32 v27, v18, 20, 11
	s_wait_alu 0xf1ff
	v_cndmask_b32_e64 v23, v16, v15, s0
	v_and_or_b32 v15, 0x1ff, v18, v17
	v_cmp_gt_i32_e64 s0, 31, v13
	v_cvt_f32_f16_e32 v16, v22
	v_mul_f16_e32 v14, v93, v14
	v_and_b32_e32 v17, 7, v23
	v_lshrrev_b32_e32 v18, 16, v18
	s_wait_alu 0xf1ff
	v_cndmask_b32_e64 v1, 0x7c00, v1, s0
	v_cmp_ne_u32_e64 s0, 0, v15
	v_cvt_f64_f32_e32 v[15:16], v16
	v_cmp_eq_u32_e64 s1, 3, v17
	s_delay_alu instid0(VALU_DEP_4)
	v_cndmask_b32_e64 v1, v1, v11, s2
	s_wait_alu 0xf1ff
	v_cndmask_b32_e64 v22, 0, 1, s0
	v_cmp_lt_i32_e64 s0, 5, v17
	v_lshrrev_b32_e32 v11, 2, v23
	v_and_or_b32 v1, 0x8000, v12, v1
	s_delay_alu instid0(VALU_DEP_4)
	v_and_or_b32 v17, 0xffe, v24, v22
	v_sub_nc_u32_e32 v22, 0x3f1, v27
	s_or_b32 s0, s1, s0
	s_wait_alu 0xfffe
	v_add_co_ci_u32_e64 v11, s0, 0, v11, s0
	v_or_b32_e32 v13, 0x1000, v17
	v_med3_i32 v22, v22, 0, 13
	v_cmp_ne_u32_e64 s0, 0, v5
	v_and_b32_e32 v1, 0xffff, v1
	s_delay_alu instid0(VALU_DEP_3) | instskip(SKIP_1) | instid1(VALU_DEP_3)
	v_lshrrev_b32_e32 v23, v22, v13
	s_wait_alu 0xf1ff
	v_cndmask_b32_e64 v5, 0, 1, s0
	v_cmp_gt_i32_e64 s0, 31, v20
	v_and_or_b32 v9, 0x1ff, v10, v9
	v_lshlrev_b32_e32 v12, v22, v23
	s_delay_alu instid0(VALU_DEP_4)
	v_lshl_or_b32 v5, v5, 9, 0x7c00
	s_wait_alu 0xf1ff
	v_cndmask_b32_e64 v11, 0x7c00, v11, s0
	v_cmp_eq_u32_e64 s0, 0x40f, v20
	v_bfe_u32 v22, v10, 20, 11
	s_wait_alu 0xf1ff
	s_delay_alu instid0(VALU_DEP_2)
	v_cndmask_b32_e64 v20, v11, v5, s0
	v_cmp_ne_u32_e64 s0, v12, v13
	v_fma_f16 v5, v90, v21, -v14
	v_lshrrev_b32_e32 v14, 8, v10
	v_add_nc_u32_e32 v21, 0xfffffc10, v27
	s_wait_alu 0xf1ff
	v_cndmask_b32_e64 v13, 0, 1, s0
	v_cmp_ne_u32_e64 s0, 0, v9
	v_cvt_f32_f16_e32 v5, v5
	s_wait_alu 0xf1ff
	s_delay_alu instid0(VALU_DEP_2) | instskip(NEXT) | instid1(VALU_DEP_2)
	v_cndmask_b32_e64 v9, 0, 1, s0
	v_cvt_f64_f32_e32 v[11:12], v5
	v_or_b32_e32 v5, v23, v13
	v_lshl_or_b32 v23, v21, 12, v17
	v_cmp_gt_i32_e64 s0, 1, v21
	v_and_or_b32 v9, 0xffe, v14, v9
	v_mul_f64_e32 v[13:14], s[8:9], v[15:16]
	v_sub_nc_u32_e32 v15, 0x3f1, v22
	v_lshrrev_b32_e32 v16, 16, v6
	s_wait_alu 0xf1ff
	v_cndmask_b32_e64 v23, v23, v5, s0
	v_or_b32_e32 v24, 0x1000, v9
	ds_load_2addr_b32 v[5:6], v4 offset0:36 offset1:141
	v_med3_i32 v15, v15, 0, 13
	v_and_or_b32 v16, 0x8000, v16, v20
	v_add_co_u32 v7, s0, v25, v7
	v_and_b32_e32 v25, 7, v23
	s_delay_alu instid0(VALU_DEP_4)
	v_lshrrev_b32_e32 v20, v15, v24
	s_wait_alu 0xf1ff
	v_add_co_ci_u32_e64 v8, s0, v26, v8, s0
	v_lshl_or_b32 v26, v16, 16, v1
	v_cmp_lt_i32_e64 s0, 5, v25
	v_lshlrev_b32_e32 v15, v15, v20
	v_cmp_eq_u32_e64 s1, 3, v25
	v_lshrrev_b32_e32 v1, 2, v23
	global_store_b32 v[7:8], v19, off
	v_add_nc_u32_e32 v19, 0xfffffc10, v22
	v_cmp_ne_u32_e64 s2, v15, v24
	s_or_b32 s0, s1, s0
	s_wait_alu 0xfffe
	v_add_co_ci_u32_e64 v1, s0, 0, v1, s0
	s_delay_alu instid0(VALU_DEP_2)
	v_cndmask_b32_e64 v15, 0, 1, s2
	v_cmp_ne_u32_e64 s0, 0, v17
	v_lshl_or_b32 v16, v19, 12, v9
	v_cmp_eq_u32_e64 s2, 0x40f, v21
	s_wait_dscnt 0x0
	v_lshrrev_b32_e32 v25, 16, v6
	v_or_b32_e32 v15, v20, v15
	v_lshrrev_b32_e32 v20, 16, v5
	s_wait_alu 0xf1ff
	v_cndmask_b32_e64 v17, 0, 1, s0
	v_cmp_gt_i32_e64 s0, 1, v19
	v_mul_f64_e32 v[11:12], s[8:9], v[11:12]
	v_mul_f16_e32 v22, v89, v20
	v_and_or_b32 v13, 0x1ff, v14, v13
	s_wait_alu 0xf1ff
	v_cndmask_b32_e64 v23, v16, v15, s0
	v_cmp_gt_i32_e64 s0, 31, v21
	v_lshl_or_b32 v17, v17, 9, 0x7c00
	v_fmac_f16_e32 v22, v87, v5
	v_bfe_u32 v24, v14, 20, 11
	v_and_b32_e32 v15, 7, v23
	s_wait_alu 0xf1ff
	v_cndmask_b32_e64 v1, 0x7c00, v1, s0
	v_cmp_ne_u32_e64 s0, 0, v13
	v_cvt_f32_f16_e32 v16, v22
	v_lshrrev_b32_e32 v22, 8, v14
	v_cmp_eq_u32_e64 s1, 3, v15
	v_cndmask_b32_e64 v1, v1, v17, s2
	s_wait_alu 0xf1ff
	v_cndmask_b32_e64 v13, 0, 1, s0
	v_cmp_lt_i32_e64 s0, 5, v15
	v_cvt_f64_f32_e32 v[15:16], v16
	v_lshrrev_b32_e32 v17, 2, v23
	v_and_or_b32 v1, 0x8000, v18, v1
	v_and_or_b32 v13, 0xffe, v22, v13
	v_sub_nc_u32_e32 v22, 0x3f1, v24
	s_or_b32 s0, s1, s0
	v_mul_f16_e32 v5, v89, v5
	s_wait_alu 0xfffe
	v_add_co_ci_u32_e64 v17, s0, 0, v17, s0
	v_or_b32_e32 v21, 0x1000, v13
	v_med3_i32 v22, v22, 0, 13
	v_cmp_ne_u32_e64 s0, 0, v9
	v_fma_f16 v5, v87, v20, -v5
	v_and_b32_e32 v1, 0xffff, v1
	s_delay_alu instid0(VALU_DEP_4)
	v_lshrrev_b32_e32 v23, v22, v21
	s_wait_alu 0xf1ff
	v_cndmask_b32_e64 v9, 0, 1, s0
	v_cmp_gt_i32_e64 s0, 31, v19
	v_cvt_f32_f16_e32 v5, v5
	v_lshlrev_b32_e32 v18, v22, v23
	s_delay_alu instid0(VALU_DEP_4)
	v_lshl_or_b32 v9, v9, 9, 0x7c00
	s_wait_alu 0xf1ff
	v_cndmask_b32_e64 v17, 0x7c00, v17, s0
	v_cmp_eq_u32_e64 s0, 0x40f, v19
	v_bfe_u32 v19, v12, 20, 11
	s_wait_alu 0xf1ff
	s_delay_alu instid0(VALU_DEP_2)
	v_cndmask_b32_e64 v17, v17, v9, s0
	v_and_or_b32 v9, 0x1ff, v12, v11
	v_cmp_ne_u32_e64 s0, v18, v21
	v_lshrrev_b32_e32 v11, 16, v10
	v_lshrrev_b32_e32 v18, 8, v12
	v_add_nc_u32_e32 v21, 0xfffffc10, v24
	s_wait_alu 0xf1ff
	v_cndmask_b32_e64 v10, 0, 1, s0
	v_cmp_ne_u32_e64 s0, 0, v9
	v_and_or_b32 v11, 0x8000, v11, v17
	s_delay_alu instid0(VALU_DEP_3) | instskip(SKIP_1) | instid1(VALU_DEP_3)
	v_or_b32_e32 v20, v23, v10
	s_wait_alu 0xf1ff
	v_cndmask_b32_e64 v9, 0, 1, s0
	v_lshl_or_b32 v23, v21, 12, v13
	v_cmp_gt_i32_e64 s0, 1, v21
	v_lshl_or_b32 v24, v11, 16, v1
	s_delay_alu instid0(VALU_DEP_4)
	v_and_or_b32 v22, 0xffe, v18, v9
	v_mul_f64_e32 v[9:10], s[8:9], v[15:16]
	v_cvt_f64_f32_e32 v[15:16], v5
	v_sub_nc_u32_e32 v18, 0x3f1, v19
	s_wait_alu 0xf1ff
	v_cndmask_b32_e64 v20, v23, v20, s0
	v_or_b32_e32 v5, 0x1000, v22
	v_add_co_u32 v7, s0, v7, s6
	v_med3_i32 v18, v18, 0, 13
	s_wait_alu 0xf1ff
	v_add_co_ci_u32_e64 v8, s0, s7, v8, s0
	v_and_b32_e32 v1, 7, v20
	v_add_co_u32 v17, s0, v7, s6
	v_lshrrev_b32_e32 v23, v18, v5
	s_delay_alu instid0(VALU_DEP_3) | instskip(NEXT) | instid1(VALU_DEP_2)
	v_cmp_eq_u32_e64 s1, 3, v1
	v_lshlrev_b32_e32 v11, v18, v23
	s_wait_alu 0xf1ff
	v_add_co_ci_u32_e64 v18, s0, s7, v8, s0
	v_cmp_lt_i32_e64 s0, 5, v1
	v_lshrrev_b32_e32 v1, 2, v20
	v_cmp_ne_u32_e64 s2, v11, v5
	v_add_nc_u32_e32 v11, 0xfffffc10, v19
	v_mul_f16_e32 v20, v88, v25
	s_or_b32 s0, s1, s0
	s_wait_alu 0xfffe
	v_add_co_ci_u32_e64 v1, s0, 0, v1, s0
	v_cndmask_b32_e64 v5, 0, 1, s2
	v_cmp_ne_u32_e64 s0, 0, v13
	v_lshl_or_b32 v19, v11, 12, v22
	v_fmac_f16_e32 v20, v86, v6
	v_mul_f16_e32 v6, v88, v6
	v_or_b32_e32 v5, v23, v5
	s_wait_alu 0xf1ff
	v_cndmask_b32_e64 v13, 0, 1, s0
	v_cmp_gt_i32_e64 s0, 1, v11
	v_and_or_b32 v9, 0x1ff, v10, v9
	v_mul_f64_e32 v[15:16], s[8:9], v[15:16]
	v_lshrrev_b32_e32 v27, 8, v10
	v_lshl_or_b32 v13, v13, 9, 0x7c00
	s_wait_alu 0xf1ff
	v_cndmask_b32_e64 v5, v19, v5, s0
	v_cmp_gt_i32_e64 s0, 31, v21
	v_cvt_f32_f16_e32 v19, v20
	v_bfe_u32 v30, v10, 20, 11
	v_fma_f16 v6, v86, v25, -v6
	v_and_b32_e32 v23, 7, v5
	s_wait_alu 0xf1ff
	v_cndmask_b32_e64 v1, 0x7c00, v1, s0
	v_cmp_ne_u32_e64 s0, 0, v9
	v_cvt_f64_f32_e32 v[19:20], v19
	v_lshrrev_b32_e32 v5, 2, v5
	v_cmp_eq_u32_e64 s1, 3, v23
	v_cvt_f32_f16_e32 v6, v6
	s_wait_alu 0xf1ff
	v_cndmask_b32_e64 v9, 0, 1, s0
	v_cmp_eq_u32_e64 s0, 0x40f, v21
	s_delay_alu instid0(VALU_DEP_2) | instskip(SKIP_1) | instid1(VALU_DEP_2)
	v_and_or_b32 v9, 0xffe, v27, v9
	s_wait_alu 0xf1ff
	v_cndmask_b32_e64 v1, v1, v13, s0
	v_cmp_lt_i32_e64 s0, 5, v23
	v_lshrrev_b32_e32 v13, 16, v14
	v_sub_nc_u32_e32 v14, 0x3f1, v30
	v_or_b32_e32 v21, 0x1000, v9
	s_delay_alu instid0(VALU_DEP_4) | instskip(NEXT) | instid1(VALU_DEP_3)
	s_or_b32 s0, s1, s0
	v_and_or_b32 v13, 0x8000, v13, v1
	s_wait_alu 0xfffe
	v_add_co_ci_u32_e64 v5, s0, 0, v5, s0
	v_cmp_ne_u32_e64 s0, 0, v22
	v_med3_i32 v14, v14, 0, 13
	v_and_b32_e32 v13, 0xffff, v13
	s_wait_alu 0xf1ff
	s_delay_alu instid0(VALU_DEP_3) | instskip(SKIP_3) | instid1(VALU_DEP_4)
	v_cndmask_b32_e64 v22, 0, 1, s0
	v_cmp_gt_i32_e64 s0, 31, v11
	v_lshrrev_b32_e32 v23, v14, v21
	v_lshrrev_b32_e32 v27, 8, v16
	v_lshl_or_b32 v22, v22, 9, 0x7c00
	s_wait_alu 0xf1ff
	v_cndmask_b32_e64 v25, 0x7c00, v5, s0
	v_cvt_f64_f32_e32 v[5:6], v6
	v_lshlrev_b32_e32 v1, v14, v23
	v_cmp_eq_u32_e64 s0, 0x40f, v11
	v_and_or_b32 v11, 0x1ff, v16, v15
	v_lshrrev_b32_e32 v15, 16, v12
	s_wait_alu 0xf1ff
	s_delay_alu instid0(VALU_DEP_3)
	v_cndmask_b32_e64 v14, v25, v22, s0
	v_cmp_ne_u32_e64 s0, v1, v21
	v_add_nc_u32_e32 v22, 0xfffffc10, v30
	v_bfe_u32 v30, v16, 20, 11
	ds_load_2addr_b32 v[0:1], v0 offset0:118 offset1:223
	v_and_or_b32 v14, 0x8000, v15, v14
	s_wait_alu 0xf1ff
	v_cndmask_b32_e64 v21, 0, 1, s0
	v_cmp_ne_u32_e64 s0, 0, v11
	v_mul_f64_e32 v[11:12], s[8:9], v[19:20]
	v_lshl_or_b32 v19, v22, 12, v9
	s_clause 0x1
	global_store_b32 v[7:8], v26, off
	global_store_b32 v[17:18], v24, off
	v_or_b32_e32 v15, v23, v21
	s_wait_alu 0xf1ff
	v_cndmask_b32_e64 v25, 0, 1, s0
	v_sub_nc_u32_e32 v21, 0x3f1, v30
	v_cmp_gt_i32_e64 s0, 1, v22
	v_lshl_or_b32 v23, v14, 16, v13
	v_lshrrev_b32_e32 v16, 16, v16
	v_and_or_b32 v20, 0xffe, v27, v25
	v_med3_i32 v21, v21, 0, 13
	s_wait_alu 0xf1ff
	v_cndmask_b32_e64 v15, v19, v15, s0
	v_add_co_u32 v7, s0, v17, s6
	v_or_b32_e32 v19, 0x1000, v20
	s_wait_alu 0xf1ff
	v_add_co_ci_u32_e64 v8, s0, s7, v18, s0
	v_and_b32_e32 v13, 7, v15
	s_wait_dscnt 0x0
	v_lshrrev_b32_e32 v17, 16, v0
	v_lshrrev_b32_e32 v14, v21, v19
	;; [unrolled: 1-line block ×3, first 2 shown]
	global_store_b32 v[7:8], v23, off
	v_cmp_lt_i32_e64 s0, 5, v13
	v_cmp_eq_u32_e64 s1, 3, v13
	v_lshlrev_b32_e32 v18, v21, v14
	v_mul_f64_e32 v[5:6], s[8:9], v[5:6]
	v_mul_f16_e32 v13, v85, v17
	s_delay_alu instid0(VALU_DEP_4) | instskip(NEXT) | instid1(VALU_DEP_3)
	s_or_b32 s0, s1, s0
	v_cmp_ne_u32_e64 s2, v18, v19
	s_wait_alu 0xfffe
	v_add_co_ci_u32_e64 v15, s0, 0, v15, s0
	v_add_nc_u32_e32 v19, 0xfffffc10, v30
	v_cmp_ne_u32_e64 s0, 0, v9
	s_wait_alu 0xf1ff
	v_cndmask_b32_e64 v18, 0, 1, s2
	v_fmac_f16_e32 v13, v84, v0
	v_mul_f16_e32 v0, v85, v0
	v_lshl_or_b32 v21, v19, 12, v20
	v_and_or_b32 v11, 0x1ff, v12, v11
	v_or_b32_e32 v18, v14, v18
	v_cndmask_b32_e64 v9, 0, 1, s0
	v_cmp_gt_i32_e64 s0, 1, v19
	v_cvt_f32_f16_e32 v13, v13
	v_bfe_u32 v24, v12, 20, 11
	v_fma_f16 v0, v84, v17, -v0
	v_lshl_or_b32 v9, v9, 9, 0x7c00
	s_wait_alu 0xf1ff
	v_cndmask_b32_e64 v18, v21, v18, s0
	v_cmp_ne_u32_e64 s0, 0, v11
	v_cvt_f64_f32_e32 v[13:14], v13
	v_lshrrev_b32_e32 v21, 8, v12
	v_cvt_f32_f16_e32 v0, v0
	v_and_b32_e32 v25, 7, v18
	s_wait_alu 0xf1ff
	v_cndmask_b32_e64 v11, 0, 1, s0
	v_cmp_gt_i32_e64 s0, 31, v22
	v_lshrrev_b32_e32 v12, 16, v12
	v_cmp_eq_u32_e64 s1, 3, v25
	s_delay_alu instid0(VALU_DEP_4)
	v_and_or_b32 v11, 0xffe, v21, v11
	s_wait_alu 0xf1ff
	v_cndmask_b32_e64 v15, 0x7c00, v15, s0
	v_sub_nc_u32_e32 v21, 0x3f1, v24
	v_cmp_eq_u32_e64 s0, 0x40f, v22
	v_lshrrev_b32_e32 v22, 16, v10
	v_lshrrev_b32_e32 v10, 2, v18
	v_and_or_b32 v5, 0x1ff, v6, v5
	v_med3_i32 v21, v21, 0, 13
	s_wait_alu 0xf1ff
	v_cndmask_b32_e64 v15, v15, v9, s0
	v_or_b32_e32 v9, 0x1000, v11
	v_cmp_lt_i32_e64 s0, 5, v25
	v_lshrrev_b32_e32 v17, 8, v6
	v_add_nc_u32_e32 v24, 0xfffffc10, v24
	v_and_or_b32 v15, 0x8000, v22, v15
	v_lshrrev_b32_e32 v18, v21, v9
	s_or_b32 s0, s1, s0
	s_wait_alu 0xfffe
	v_add_co_ci_u32_e64 v25, s0, 0, v10, s0
	s_delay_alu instid0(VALU_DEP_2) | instskip(SKIP_3) | instid1(VALU_DEP_2)
	v_lshlrev_b32_e32 v10, v21, v18
	v_cmp_ne_u32_e64 s0, 0, v5
	v_bfe_u32 v21, v6, 20, 11
	s_wait_alu 0xf1ff
	v_cndmask_b32_e64 v5, 0, 1, s0
	v_cmp_ne_u32_e64 s0, v10, v9
	v_mul_f64_e32 v[9:10], s[8:9], v[13:14]
	s_delay_alu instid0(VALU_DEP_3) | instskip(SKIP_1) | instid1(VALU_DEP_3)
	v_and_or_b32 v5, 0xffe, v17, v5
	s_wait_alu 0xf1ff
	v_cndmask_b32_e64 v26, 0, 1, s0
	v_cmp_ne_u32_e64 s0, 0, v20
	v_sub_nc_u32_e32 v17, 0x3f1, v21
	v_cvt_f64_f32_e32 v[13:14], v0
	v_lshl_or_b32 v20, v24, 12, v11
	v_or_b32_e32 v18, v18, v26
	s_wait_alu 0xf1ff
	v_cndmask_b32_e64 v0, 0, 1, s0
	v_cmp_gt_i32_e64 s0, 31, v19
	v_or_b32_e32 v26, 0x1000, v5
	v_med3_i32 v17, v17, 0, 13
	s_delay_alu instid0(VALU_DEP_4) | instskip(SKIP_4) | instid1(VALU_DEP_1)
	v_lshl_or_b32 v0, v0, 9, 0x7c00
	s_wait_alu 0xf1ff
	v_cndmask_b32_e64 v25, 0x7c00, v25, s0
	v_cmp_gt_i32_e64 s0, 1, v24
	s_wait_alu 0xf1ff
	v_cndmask_b32_e64 v18, v20, v18, s0
	v_lshrrev_b32_e32 v20, v17, v26
	v_cmp_eq_u32_e64 s0, 0x40f, v19
	s_delay_alu instid0(VALU_DEP_3) | instskip(NEXT) | instid1(VALU_DEP_3)
	v_and_b32_e32 v19, 7, v18
	v_lshlrev_b32_e32 v17, v17, v20
	s_wait_alu 0xf1ff
	s_delay_alu instid0(VALU_DEP_3) | instskip(NEXT) | instid1(VALU_DEP_3)
	v_cndmask_b32_e64 v0, v25, v0, s0
	v_cmp_lt_i32_e64 s0, 5, v19
	s_delay_alu instid0(VALU_DEP_3) | instskip(NEXT) | instid1(VALU_DEP_3)
	v_cmp_ne_u32_e64 s1, v17, v26
	v_and_or_b32 v22, 0x8000, v16, v0
	v_add_nc_u32_e32 v17, 0xfffffc10, v21
	s_wait_alu 0xf1ff
	s_delay_alu instid0(VALU_DEP_3)
	v_cndmask_b32_e64 v0, 0, 1, s1
	v_cmp_eq_u32_e64 s1, 3, v19
	v_and_b32_e32 v19, 0xffff, v15
	v_lshrrev_b32_e32 v15, 2, v18
	v_lshl_or_b32 v16, v17, 12, v5
	v_or_b32_e32 v0, v20, v0
	s_or_b32 s0, s1, s0
	v_lshrrev_b32_e32 v18, 16, v1
	s_wait_alu 0xfffe
	v_add_co_ci_u32_e64 v15, s0, 0, v15, s0
	v_cmp_ne_u32_e64 s0, 0, v11
	v_and_or_b32 v9, 0x1ff, v10, v9
	v_mul_f64_e32 v[13:14], s[8:9], v[13:14]
	v_lshrrev_b32_e32 v21, 8, v10
	v_bfe_u32 v23, v10, 20, 11
	s_wait_alu 0xf1ff
	v_cndmask_b32_e64 v11, 0, 1, s0
	v_cmp_gt_i32_e64 s0, 1, v17
	v_lshl_or_b32 v19, v22, 16, v19
	v_lshrrev_b32_e32 v10, 16, v10
	s_delay_alu instid0(VALU_DEP_4) | instskip(SKIP_4) | instid1(VALU_DEP_3)
	v_lshl_or_b32 v11, v11, 9, 0x7c00
	s_wait_alu 0xf1ff
	v_cndmask_b32_e64 v0, v16, v0, s0
	v_cmp_gt_i32_e64 s0, 31, v24
	v_mul_f16_e32 v16, v83, v18
	v_and_b32_e32 v20, 7, v0
	s_wait_alu 0xf1ff
	s_delay_alu instid0(VALU_DEP_3)
	v_cndmask_b32_e64 v15, 0x7c00, v15, s0
	v_cmp_ne_u32_e64 s0, 0, v9
	v_fmac_f16_e32 v16, v82, v1
	v_lshrrev_b32_e32 v0, 2, v0
	v_cmp_eq_u32_e64 s1, 3, v20
	v_mul_f16_e32 v1, v83, v1
	s_wait_alu 0xf1ff
	v_cndmask_b32_e64 v9, 0, 1, s0
	v_cmp_eq_u32_e64 s0, 0x40f, v24
	s_delay_alu instid0(VALU_DEP_2) | instskip(SKIP_1) | instid1(VALU_DEP_2)
	v_and_or_b32 v9, 0xffe, v21, v9
	s_wait_alu 0xf1ff
	v_cndmask_b32_e64 v11, v15, v11, s0
	v_cvt_f32_f16_e32 v15, v16
	v_cmp_lt_i32_e64 s0, 5, v20
	v_sub_nc_u32_e32 v21, 0x3f1, v23
	v_or_b32_e32 v20, 0x1000, v9
	v_and_or_b32 v25, 0x8000, v12, v11
	v_cvt_f64_f32_e32 v[15:16], v15
	s_or_b32 s0, s1, s0
	v_med3_i32 v21, v21, 0, 13
	s_wait_alu 0xfffe
	v_add_co_ci_u32_e64 v0, s0, 0, v0, s0
	v_cmp_ne_u32_e64 s0, 0, v5
	s_delay_alu instid0(VALU_DEP_3) | instskip(SKIP_1) | instid1(VALU_DEP_2)
	v_lshrrev_b32_e32 v24, v21, v20
	s_wait_alu 0xf1ff
	v_cndmask_b32_e64 v5, 0, 1, s0
	v_cmp_gt_i32_e64 s0, 31, v17
	s_delay_alu instid0(VALU_DEP_3) | instskip(SKIP_1) | instid1(VALU_DEP_4)
	v_lshlrev_b32_e32 v11, v21, v24
	v_lshrrev_b32_e32 v21, 16, v6
	v_lshl_or_b32 v5, v5, 9, 0x7c00
	s_wait_alu 0xf1ff
	v_cndmask_b32_e64 v0, 0x7c00, v0, s0
	v_cmp_eq_u32_e64 s0, 0x40f, v17
	s_wait_alu 0xf1ff
	s_delay_alu instid0(VALU_DEP_1)
	v_cndmask_b32_e64 v17, v0, v5, s0
	v_fma_f16 v0, v82, v18, -v1
	v_and_or_b32 v1, 0x1ff, v14, v13
	v_cmp_ne_u32_e64 s0, v11, v20
	v_add_nc_u32_e32 v13, 0xfffffc10, v23
	v_lshrrev_b32_e32 v11, 8, v14
	v_cvt_f32_f16_e32 v0, v0
	v_bfe_u32 v18, v14, 20, 11
	s_wait_alu 0xf1ff
	v_cndmask_b32_e64 v5, 0, 1, s0
	v_cmp_ne_u32_e64 s0, 0, v1
	v_lshl_or_b32 v20, v13, 12, v9
	v_cvt_f64_f32_e32 v[0:1], v0
	v_and_or_b32 v17, 0x8000, v21, v17
	v_or_b32_e32 v12, v24, v5
	s_wait_alu 0xf1ff
	v_cndmask_b32_e64 v6, 0, 1, s0
	v_cmp_gt_i32_e64 s0, 1, v13
	v_sub_nc_u32_e32 v24, 0x3f1, v18
	v_and_b32_e32 v21, 0xffff, v25
	s_delay_alu instid0(VALU_DEP_4)
	v_and_or_b32 v23, 0xffe, v11, v6
	ds_load_2addr_b32 v[5:6], v2 offset0:72 offset1:177
	s_wait_alu 0xf1ff
	v_cndmask_b32_e64 v20, v20, v12, s0
	v_mul_f64_e32 v[11:12], s[8:9], v[15:16]
	v_med3_i32 v16, v24, 0, 13
	v_or_b32_e32 v15, 0x1000, v23
	v_add_co_u32 v7, s0, v7, s6
	v_and_b32_e32 v22, 7, v20
	s_wait_alu 0xf1ff
	v_add_co_ci_u32_e64 v8, s0, s7, v8, s0
	v_lshrrev_b32_e32 v24, v16, v15
	v_lshl_or_b32 v21, v17, 16, v21
	v_cmp_lt_i32_e64 s0, 5, v22
	v_cmp_eq_u32_e64 s1, 3, v22
	v_lshrrev_b32_e32 v17, 2, v20
	v_lshlrev_b32_e32 v16, v16, v24
	v_add_nc_u32_e32 v20, 0xfffffc10, v18
	s_delay_alu instid0(VALU_DEP_4)
	s_or_b32 s0, s1, s0
	s_wait_dscnt 0x0
	v_lshrrev_b32_e32 v22, 16, v5
	v_cmp_ne_u32_e64 s2, v16, v15
	s_wait_alu 0xfffe
	v_add_co_ci_u32_e64 v17, s0, 0, v17, s0
	v_cmp_ne_u32_e64 s0, 0, v9
	v_mul_f16_e32 v16, v81, v22
	s_wait_alu 0xf1ff
	v_cndmask_b32_e64 v15, 0, 1, s2
	v_lshl_or_b32 v18, v20, 12, v23
	v_cndmask_b32_e64 v9, 0, 1, s0
	v_fmac_f16_e32 v16, v80, v5
	s_delay_alu instid0(VALU_DEP_4)
	v_or_b32_e32 v15, v24, v15
	v_mul_f64_e32 v[0:1], s[8:9], v[0:1]
	v_cmp_gt_i32_e64 s0, 1, v20
	v_lshl_or_b32 v9, v9, 9, 0x7c00
	v_mul_f16_e32 v5, v81, v5
	s_wait_alu 0xf1ff
	s_delay_alu instid0(VALU_DEP_3)
	v_cndmask_b32_e64 v24, v18, v15, s0
	v_cvt_f32_f16_e32 v15, v16
	v_cmp_gt_i32_e64 s0, 31, v13
	v_and_or_b32 v11, 0x1ff, v12, v11
	v_fma_f16 v5, v80, v22, -v5
	v_and_b32_e32 v26, 7, v24
	v_cvt_f64_f32_e32 v[15:16], v15
	s_wait_alu 0xf1ff
	v_cndmask_b32_e64 v25, 0x7c00, v17, s0
	v_add_co_u32 v17, s0, v7, s6
	s_wait_alu 0xf1ff
	v_add_co_ci_u32_e64 v18, s0, s7, v8, s0
	v_cmp_eq_u32_e64 s0, 0x40f, v13
	v_cmp_ne_u32_e64 s1, 0, v11
	v_lshrrev_b32_e32 v24, 2, v24
	v_lshrrev_b32_e32 v13, 8, v12
	v_cvt_f32_f16_e32 v5, v5
	s_wait_alu 0xf1ff
	v_cndmask_b32_e64 v9, v25, v9, s0
	v_cmp_lt_i32_e64 s0, 5, v26
	v_cndmask_b32_e64 v11, 0, 1, s1
	v_cmp_eq_u32_e64 s1, 3, v26
	v_bfe_u32 v25, v12, 20, 11
	v_and_or_b32 v27, 0x8000, v10, v9
	global_store_b32 v[7:8], v19, off
	global_store_b32 v[17:18], v21, off
	v_and_or_b32 v11, 0xffe, v13, v11
	s_or_b32 s0, s1, s0
	v_sub_nc_u32_e32 v13, 0x3f1, v25
	s_wait_alu 0xfffe
	v_add_co_ci_u32_e64 v24, s0, 0, v24, s0
	v_cmp_ne_u32_e64 s0, 0, v23
	v_or_b32_e32 v26, 0x1000, v11
	v_med3_i32 v13, v13, 0, 13
	v_and_or_b32 v0, 0x1ff, v1, v0
	v_add_nc_u32_e32 v22, 0xfffffc10, v25
	s_wait_alu 0xf1ff
	v_cndmask_b32_e64 v23, 0, 1, s0
	v_cmp_gt_i32_e64 s0, 31, v20
	v_lshrrev_b32_e32 v30, v13, v26
	v_lshrrev_b32_e32 v12, 16, v12
	v_cmp_eq_u32_e64 s2, 0x40f, v22
	v_lshl_or_b32 v23, v23, 9, 0x7c00
	s_wait_alu 0xf1ff
	v_cndmask_b32_e64 v24, 0x7c00, v24, s0
	v_cmp_eq_u32_e64 s0, 0x40f, v20
	v_lshlrev_b32_e32 v13, v13, v30
	v_mul_f64_e32 v[9:10], s[8:9], v[15:16]
	v_lshl_or_b32 v16, v22, 12, v11
	s_wait_alu 0xf1ff
	v_cndmask_b32_e64 v20, v24, v23, s0
	v_cmp_ne_u32_e64 s0, 0, v0
	v_lshrrev_b32_e32 v23, 16, v14
	v_lshrrev_b32_e32 v14, 8, v1
	v_bfe_u32 v24, v1, 20, 11
	v_lshrrev_b32_e32 v1, 16, v1
	s_wait_alu 0xf1ff
	v_cndmask_b32_e64 v0, 0, 1, s0
	v_cmp_ne_u32_e64 s0, v13, v26
	s_delay_alu instid0(VALU_DEP_2) | instskip(SKIP_1) | instid1(VALU_DEP_2)
	v_and_or_b32 v0, 0xffe, v14, v0
	s_wait_alu 0xf1ff
	v_cndmask_b32_e64 v13, 0, 1, s0
	v_sub_nc_u32_e32 v14, 0x3f1, v24
	v_cmp_gt_i32_e64 s0, 1, v22
	v_or_b32_e32 v25, 0x1000, v0
	s_delay_alu instid0(VALU_DEP_4) | instskip(NEXT) | instid1(VALU_DEP_4)
	v_or_b32_e32 v15, v30, v13
	v_med3_i32 v26, v14, 0, 13
	v_cvt_f64_f32_e32 v[13:14], v5
	v_and_or_b32 v5, 0x8000, v23, v20
	v_and_b32_e32 v20, 0xffff, v27
	s_wait_alu 0xf1ff
	v_cndmask_b32_e64 v15, v16, v15, s0
	v_lshrrev_b32_e32 v16, v26, v25
	v_add_co_u32 v7, s0, v17, s6
	v_lshl_or_b32 v19, v5, 16, v20
	s_delay_alu instid0(VALU_DEP_4) | instskip(NEXT) | instid1(VALU_DEP_4)
	v_and_b32_e32 v5, 7, v15
	v_lshlrev_b32_e32 v20, v26, v16
	v_lshrrev_b32_e32 v17, 16, v6
	s_wait_alu 0xf1ff
	v_add_co_ci_u32_e64 v8, s0, s7, v18, s0
	v_cmp_lt_i32_e64 s0, 5, v5
	v_cmp_ne_u32_e64 s1, v20, v25
	v_add_nc_u32_e32 v20, 0xfffffc10, v24
	v_mul_f16_e32 v21, v79, v17
	v_and_or_b32 v9, 0x1ff, v10, v9
	v_lshrrev_b32_e32 v23, 8, v10
	s_wait_alu 0xf1ff
	v_cndmask_b32_e64 v18, 0, 1, s1
	v_cmp_eq_u32_e64 s1, 3, v5
	v_lshrrev_b32_e32 v5, 2, v15
	v_fmac_f16_e32 v21, v77, v6
	s_delay_alu instid0(VALU_DEP_4) | instskip(NEXT) | instid1(VALU_DEP_4)
	v_or_b32_e32 v15, v16, v18
	s_or_b32 s0, s1, s0
	v_lshl_or_b32 v16, v20, 12, v0
	s_wait_alu 0xfffe
	v_add_co_ci_u32_e64 v5, s0, 0, v5, s0
	v_cmp_gt_i32_e64 s0, 1, v20
	v_cvt_f32_f16_e32 v18, v21
	s_wait_alu 0xf1ff
	s_delay_alu instid0(VALU_DEP_2) | instskip(SKIP_1) | instid1(VALU_DEP_3)
	v_cndmask_b32_e64 v21, v16, v15, s0
	v_cmp_ne_u32_e64 s0, 0, v9
	v_cvt_f64_f32_e32 v[15:16], v18
	v_bfe_u32 v18, v10, 20, 11
	v_mul_f64_e32 v[13:14], s[8:9], v[13:14]
	v_and_b32_e32 v24, 7, v21
	s_wait_alu 0xf1ff
	v_cndmask_b32_e64 v9, 0, 1, s0
	v_cmp_ne_u32_e64 s0, 0, v11
	v_lshrrev_b32_e32 v21, 2, v21
	v_cmp_eq_u32_e64 s1, 3, v24
	s_delay_alu instid0(VALU_DEP_4)
	v_and_or_b32 v9, 0xffe, v23, v9
	s_wait_alu 0xf1ff
	v_cndmask_b32_e64 v11, 0, 1, s0
	v_cmp_gt_i32_e64 s0, 31, v22
	v_sub_nc_u32_e32 v23, 0x3f1, v18
	v_add_nc_u32_e32 v18, 0xfffffc10, v18
	v_or_b32_e32 v25, 0x1000, v9
	v_lshl_or_b32 v11, v11, 9, 0x7c00
	s_wait_alu 0xf1ff
	v_cndmask_b32_e64 v5, 0x7c00, v5, s0
	v_cmp_lt_i32_e64 s0, 5, v24
	v_med3_i32 v23, v23, 0, 13
	s_delay_alu instid0(VALU_DEP_3) | instskip(NEXT) | instid1(VALU_DEP_3)
	v_cndmask_b32_e64 v5, v5, v11, s2
	s_or_b32 s0, s1, s0
	s_delay_alu instid0(VALU_DEP_2)
	v_lshrrev_b32_e32 v11, v23, v25
	s_wait_alu 0xfffe
	v_add_co_ci_u32_e64 v21, s0, 0, v21, s0
	v_cmp_ne_u32_e64 s0, 0, v0
	v_and_or_b32 v12, 0x8000, v12, v5
	v_lshlrev_b32_e32 v22, v23, v11
	s_wait_alu 0xf1ff
	s_delay_alu instid0(VALU_DEP_3) | instskip(SKIP_2) | instid1(VALU_DEP_3)
	v_cndmask_b32_e64 v0, 0, 1, s0
	v_cmp_gt_i32_e64 s0, 31, v20
	v_and_b32_e32 v12, 0xffff, v12
	v_lshl_or_b32 v0, v0, 9, 0x7c00
	s_wait_alu 0xf1ff
	s_delay_alu instid0(VALU_DEP_3) | instskip(SKIP_3) | instid1(VALU_DEP_2)
	v_cndmask_b32_e64 v21, 0x7c00, v21, s0
	v_cmp_ne_u32_e64 s0, v22, v25
	v_and_or_b32 v13, 0x1ff, v14, v13
	s_wait_alu 0xf1ff
	v_cndmask_b32_e64 v5, 0, 1, s0
	v_cmp_eq_u32_e64 s0, 0x40f, v20
	ds_load_b32 v20, v75 offset:4200
	v_or_b32_e32 v11, v11, v5
	s_wait_alu 0xf1ff
	v_cndmask_b32_e64 v0, v21, v0, s0
	v_mul_f16_e32 v21, v79, v6
	v_mul_f64_e32 v[5:6], s[8:9], v[15:16]
	v_lshl_or_b32 v15, v18, 12, v9
	v_cmp_gt_i32_e64 s0, 1, v18
	s_delay_alu instid0(VALU_DEP_4)
	v_fma_f16 v16, v77, v17, -v21
	v_bfe_u32 v17, v14, 20, 11
	v_and_or_b32 v21, 0x8000, v1, v0
	s_wait_alu 0xf1ff
	v_cndmask_b32_e64 v11, v15, v11, s0
	v_cmp_ne_u32_e64 s0, 0, v13
	v_cvt_f32_f16_e32 v15, v16
	v_lshrrev_b32_e32 v16, 8, v14
	v_lshl_or_b32 v21, v21, 16, v12
	v_and_b32_e32 v22, 7, v11
	s_wait_alu 0xf1ff
	v_cndmask_b32_e64 v13, 0, 1, s0
	v_cvt_f64_f32_e32 v[0:1], v15
	v_sub_nc_u32_e32 v15, 0x3f1, v17
	v_lshrrev_b32_e32 v11, 2, v11
	v_cmp_lt_i32_e64 s0, 5, v22
	v_and_or_b32 v13, 0xffe, v16, v13
	s_wait_dscnt 0x0
	v_lshrrev_b32_e32 v16, 16, v20
	v_cmp_eq_u32_e64 s1, 3, v22
	v_med3_i32 v15, v15, 0, 13
	v_add_nc_u32_e32 v17, 0xfffffc10, v17
	v_or_b32_e32 v23, 0x1000, v13
	v_mul_f16_e32 v24, v78, v16
	s_or_b32 s0, s1, s0
	s_wait_alu 0xfffe
	v_add_co_ci_u32_e64 v11, s0, 0, v11, s0
	v_lshrrev_b32_e32 v22, v15, v23
	v_fmac_f16_e32 v24, v76, v20
	v_cmp_ne_u32_e64 s0, 0, v9
	v_mul_f16_e32 v20, v78, v20
	s_delay_alu instid0(VALU_DEP_4) | instskip(NEXT) | instid1(VALU_DEP_4)
	v_lshlrev_b32_e32 v15, v15, v22
	v_cvt_f32_f16_e32 v12, v24
	s_wait_alu 0xf1ff
	v_cndmask_b32_e64 v9, 0, 1, s0
	v_cmp_gt_i32_e64 s0, 31, v18
	v_and_or_b32 v5, 0x1ff, v6, v5
	v_fma_f16 v16, v76, v16, -v20
	v_lshl_or_b32 v20, v17, 12, v13
	v_lshl_or_b32 v9, v9, 9, 0x7c00
	s_wait_alu 0xf1ff
	v_cndmask_b32_e64 v24, 0x7c00, v11, s0
	v_cvt_f64_f32_e32 v[11:12], v12
	v_cmp_ne_u32_e64 s0, v15, v23
	v_lshrrev_b32_e32 v23, 8, v6
	v_cvt_f32_f16_e32 v16, v16
	s_wait_alu 0xf1ff
	s_delay_alu instid0(VALU_DEP_3) | instskip(SKIP_2) | instid1(VALU_DEP_3)
	v_cndmask_b32_e64 v15, 0, 1, s0
	v_cmp_ne_u32_e64 s0, 0, v5
	v_mul_f64_e32 v[0:1], s[8:9], v[0:1]
	v_or_b32_e32 v15, v22, v15
	s_wait_alu 0xf1ff
	s_delay_alu instid0(VALU_DEP_3) | instskip(SKIP_3) | instid1(VALU_DEP_4)
	v_cndmask_b32_e64 v5, 0, 1, s0
	v_bfe_u32 v22, v6, 20, 11
	v_cmp_gt_i32_e64 s0, 1, v17
	v_lshrrev_b32_e32 v6, 16, v6
	v_and_or_b32 v5, 0xffe, v23, v5
	s_delay_alu instid0(VALU_DEP_4)
	v_sub_nc_u32_e32 v23, 0x3f1, v22
	s_wait_alu 0xf1ff
	v_cndmask_b32_e64 v20, v20, v15, s0
	v_cmp_eq_u32_e64 s0, 0x40f, v18
	v_cvt_f64_f32_e32 v[15:16], v16
	v_or_b32_e32 v25, 0x1000, v5
	v_med3_i32 v23, v23, 0, 13
	v_and_b32_e32 v26, 7, v20
	s_wait_alu 0xf1ff
	v_cndmask_b32_e64 v18, v24, v9, s0
	v_add_co_u32 v9, s0, v7, s6
	v_lshrrev_b32_e32 v27, v23, v25
	v_lshrrev_b32_e32 v24, 16, v10
	s_wait_alu 0xf1ff
	v_add_co_ci_u32_e64 v10, s0, s7, v8, s0
	v_cmp_lt_i32_e64 s0, 5, v26
	v_cmp_eq_u32_e64 s1, 3, v26
	v_lshrrev_b32_e32 v20, 2, v20
	v_lshlrev_b32_e32 v23, v23, v27
	v_add_nc_u32_e32 v22, 0xfffffc10, v22
	v_and_or_b32 v18, 0x8000, v24, v18
	s_or_b32 s0, s1, s0
	v_mul_f64_e32 v[11:12], s[8:9], v[11:12]
	s_wait_alu 0xfffe
	v_add_co_ci_u32_e64 v20, s0, 0, v20, s0
	v_cmp_ne_u32_e64 s2, v23, v25
	v_cmp_ne_u32_e64 s0, 0, v13
	v_lshl_or_b32 v24, v22, 12, v5
	s_wait_alu 0xf1ff
	s_delay_alu instid0(VALU_DEP_3) | instskip(NEXT) | instid1(VALU_DEP_3)
	v_cndmask_b32_e64 v23, 0, 1, s2
	v_cndmask_b32_e64 v13, 0, 1, s0
	v_cmp_gt_i32_e64 s0, 31, v17
	v_and_or_b32 v0, 0x1ff, v1, v0
	v_lshrrev_b32_e32 v25, 8, v1
	v_or_b32_e32 v23, v27, v23
	v_lshl_or_b32 v13, v13, 9, 0x7c00
	s_wait_alu 0xf1ff
	v_cndmask_b32_e64 v20, 0x7c00, v20, s0
	v_cmp_gt_i32_e64 s0, 1, v22
	s_wait_alu 0xf1ff
	s_delay_alu instid0(VALU_DEP_1) | instskip(SKIP_1) | instid1(VALU_DEP_2)
	v_cndmask_b32_e64 v23, v24, v23, s0
	v_cmp_eq_u32_e64 s0, 0x40f, v17
	v_and_b32_e32 v24, 7, v23
	s_wait_alu 0xf1ff
	s_delay_alu instid0(VALU_DEP_2)
	v_cndmask_b32_e64 v17, v20, v13, s0
	v_lshrrev_b32_e32 v20, 16, v14
	v_cmp_ne_u32_e64 s0, 0, v0
	v_mul_f64_e32 v[13:14], s[8:9], v[15:16]
	v_bfe_u32 v15, v1, 20, 11
	v_cmp_eq_u32_e64 s1, 3, v24
	v_and_or_b32 v16, 0x8000, v20, v17
	v_and_b32_e32 v17, 0xffff, v18
	s_wait_alu 0xf1ff
	v_cndmask_b32_e64 v0, 0, 1, s0
	v_cmp_lt_i32_e64 s0, 5, v24
	v_sub_nc_u32_e32 v18, 0x3f1, v15
	v_and_or_b32 v11, 0x1ff, v12, v11
	v_lshl_or_b32 v16, v16, 16, v17
	v_lshrrev_b32_e32 v17, 2, v23
	v_and_or_b32 v0, 0xffe, v25, v0
	s_or_b32 s0, s1, s0
	v_med3_i32 v18, v18, 0, 13
	v_lshrrev_b32_e32 v24, 8, v12
	s_wait_alu 0xfffe
	v_add_co_ci_u32_e64 v17, s0, 0, v17, s0
	v_or_b32_e32 v20, 0x1000, v0
	v_cmp_ne_u32_e64 s0, 0, v5
	v_bfe_u32 v25, v12, 20, 11
	v_add_nc_u32_e32 v15, 0xfffffc10, v15
	v_lshrrev_b32_e32 v1, 16, v1
	v_lshrrev_b32_e32 v23, v18, v20
	s_wait_alu 0xf1ff
	v_cndmask_b32_e64 v5, 0, 1, s0
	v_cmp_gt_i32_e64 s0, 31, v22
	v_lshrrev_b32_e32 v12, 16, v12
	v_lshlrev_b32_e32 v18, v18, v23
	s_delay_alu instid0(VALU_DEP_4) | instskip(SKIP_4) | instid1(VALU_DEP_1)
	v_lshl_or_b32 v5, v5, 9, 0x7c00
	s_wait_alu 0xf1ff
	v_cndmask_b32_e64 v17, 0x7c00, v17, s0
	v_cmp_ne_u32_e64 s0, 0, v11
	s_wait_alu 0xf1ff
	v_cndmask_b32_e64 v11, 0, 1, s0
	v_cmp_ne_u32_e64 s0, v18, v20
	v_sub_nc_u32_e32 v20, 0x3f1, v25
	v_and_or_b32 v13, 0x1ff, v14, v13
	s_delay_alu instid0(VALU_DEP_4)
	v_and_or_b32 v11, 0xffe, v24, v11
	s_wait_alu 0xf1ff
	v_cndmask_b32_e64 v18, 0, 1, s0
	v_cmp_eq_u32_e64 s0, 0x40f, v22
	v_med3_i32 v20, v20, 0, 13
	v_bfe_u32 v24, v14, 20, 11
	v_or_b32_e32 v22, 0x1000, v11
	s_wait_alu 0xf1ff
	v_cndmask_b32_e64 v5, v17, v5, s0
	v_or_b32_e32 v17, v23, v18
	v_lshl_or_b32 v18, v15, 12, v0
	v_cmp_gt_i32_e64 s0, 1, v15
	v_lshrrev_b32_e32 v23, 8, v14
	v_and_or_b32 v5, 0x8000, v6, v5
	s_wait_alu 0xf1ff
	s_delay_alu instid0(VALU_DEP_3) | instskip(SKIP_2) | instid1(VALU_DEP_3)
	v_cndmask_b32_e64 v17, v18, v17, s0
	v_lshrrev_b32_e32 v18, v20, v22
	v_cmp_ne_u32_e64 s0, 0, v13
	v_and_b32_e32 v26, 7, v17
	s_delay_alu instid0(VALU_DEP_3) | instskip(SKIP_1) | instid1(VALU_DEP_3)
	v_lshlrev_b32_e32 v20, v20, v18
	s_wait_alu 0xf1ff
	v_cndmask_b32_e64 v13, 0, 1, s0
	v_lshrrev_b32_e32 v17, 2, v17
	v_cmp_lt_i32_e64 s0, 5, v26
	v_cmp_ne_u32_e64 s1, v20, v22
	s_delay_alu instid0(VALU_DEP_4)
	v_and_or_b32 v6, 0xffe, v23, v13
	v_sub_nc_u32_e32 v13, 0x3f1, v24
	v_add_nc_u32_e32 v23, 0xfffffc10, v25
	s_wait_alu 0xf1ff
	v_cndmask_b32_e64 v20, 0, 1, s1
	v_cmp_eq_u32_e64 s1, 3, v26
	v_or_b32_e32 v22, 0x1000, v6
	v_med3_i32 v13, v13, 0, 13
	v_lshl_or_b32 v25, v23, 12, v11
	v_or_b32_e32 v18, v18, v20
	s_or_b32 s0, s1, s0
	s_wait_alu 0xfffe
	v_add_co_ci_u32_e64 v17, s0, 0, v17, s0
	v_lshrrev_b32_e32 v20, v13, v22
	v_cmp_gt_i32_e64 s0, 1, v23
	s_delay_alu instid0(VALU_DEP_2) | instskip(SKIP_1) | instid1(VALU_DEP_2)
	v_lshlrev_b32_e32 v13, v13, v20
	s_wait_alu 0xf1ff
	v_cndmask_b32_e64 v18, v25, v18, s0
	v_cmp_ne_u32_e64 s0, 0, v0
	s_wait_alu 0xf1ff
	s_delay_alu instid0(VALU_DEP_1) | instskip(SKIP_3) | instid1(VALU_DEP_4)
	v_cndmask_b32_e64 v0, 0, 1, s0
	v_cmp_ne_u32_e64 s0, v13, v22
	v_add_nc_u32_e32 v22, 0xfffffc10, v24
	v_and_b32_e32 v24, 7, v18
	v_lshl_or_b32 v0, v0, 9, 0x7c00
	s_wait_alu 0xf1ff
	v_cndmask_b32_e64 v13, 0, 1, s0
	v_cmp_gt_i32_e64 s0, 31, v15
	v_cmp_gt_i32_e64 s2, 1, v22
	v_cmp_eq_u32_e64 s1, 3, v24
	s_delay_alu instid0(VALU_DEP_4) | instskip(SKIP_4) | instid1(VALU_DEP_3)
	v_or_b32_e32 v13, v20, v13
	v_lshl_or_b32 v20, v22, 12, v6
	s_wait_alu 0xf1ff
	v_cndmask_b32_e64 v17, 0x7c00, v17, s0
	v_cmp_lt_i32_e64 s0, 5, v24
	v_cndmask_b32_e64 v13, v20, v13, s2
	v_cmp_eq_u32_e64 s2, 0x40f, v15
	v_lshrrev_b32_e32 v15, 2, v18
	s_delay_alu instid0(VALU_DEP_4) | instskip(NEXT) | instid1(VALU_DEP_2)
	s_or_b32 s0, s1, s0
	v_cndmask_b32_e64 v0, v17, v0, s2
	s_wait_alu 0xfffe
	s_delay_alu instid0(VALU_DEP_2)
	v_add_co_ci_u32_e64 v15, s0, 0, v15, s0
	v_and_b32_e32 v17, 7, v13
	v_cmp_ne_u32_e64 s0, 0, v11
	v_lshrrev_b32_e32 v13, 2, v13
	v_cmp_gt_i32_e64 s2, 31, v23
	v_and_or_b32 v0, 0x8000, v1, v0
	v_cmp_eq_u32_e64 s1, 3, v17
	s_wait_alu 0xf1ff
	v_cndmask_b32_e64 v11, 0, 1, s0
	v_cmp_lt_i32_e64 s0, 5, v17
	v_cndmask_b32_e64 v15, 0x7c00, v15, s2
	v_and_b32_e32 v1, 0xffff, v5
	s_delay_alu instid0(VALU_DEP_4) | instskip(NEXT) | instid1(VALU_DEP_4)
	v_lshl_or_b32 v11, v11, 9, 0x7c00
	s_or_b32 s0, s1, s0
	s_wait_alu 0xfffe
	v_add_co_ci_u32_e64 v13, s0, 0, v13, s0
	v_cmp_ne_u32_e64 s0, 0, v6
	s_wait_alu 0xf1ff
	s_delay_alu instid0(VALU_DEP_1) | instskip(SKIP_1) | instid1(VALU_DEP_2)
	v_cndmask_b32_e64 v6, 0, 1, s0
	v_cmp_eq_u32_e64 s0, 0x40f, v23
	v_lshl_or_b32 v6, v6, 9, 0x7c00
	s_wait_alu 0xf1ff
	s_delay_alu instid0(VALU_DEP_2) | instskip(SKIP_1) | instid1(VALU_DEP_2)
	v_cndmask_b32_e64 v11, v15, v11, s0
	v_cmp_gt_i32_e64 s0, 31, v22
	v_and_or_b32 v11, 0x8000, v12, v11
	s_wait_alu 0xf1ff
	s_delay_alu instid0(VALU_DEP_2) | instskip(SKIP_2) | instid1(VALU_DEP_1)
	v_cndmask_b32_e64 v13, 0x7c00, v13, s0
	v_cmp_eq_u32_e64 s0, 0x40f, v22
	s_wait_alu 0xf1ff
	v_cndmask_b32_e64 v12, v13, v6, s0
	v_lshrrev_b32_e32 v13, 16, v14
	v_add_co_u32 v5, s0, v9, s6
	s_wait_alu 0xf1ff
	v_add_co_ci_u32_e64 v6, s0, s7, v10, s0
	v_lshl_or_b32 v14, v0, 16, v1
	v_and_or_b32 v0, 0x8000, v13, v12
	v_and_b32_e32 v1, 0xffff, v11
	v_add_co_u32 v11, s0, v5, s6
	s_wait_alu 0xf1ff
	v_add_co_ci_u32_e64 v12, s0, s7, v6, s0
	s_delay_alu instid0(VALU_DEP_3) | instskip(NEXT) | instid1(VALU_DEP_3)
	v_lshl_or_b32 v13, v0, 16, v1
	v_add_co_u32 v0, s0, v11, s6
	s_wait_alu 0xf1ff
	s_delay_alu instid0(VALU_DEP_3)
	v_add_co_ci_u32_e64 v1, s0, s7, v12, s0
	global_store_b32 v[7:8], v19, off
	global_store_b32 v[9:10], v21, off
	;; [unrolled: 1-line block ×5, first 2 shown]
	s_and_b32 exec_lo, exec_lo, vcc_lo
	s_cbranch_execz .LBB0_23
; %bb.22:
	global_load_b32 v7, v[28:29], off offset:220
	ds_load_2addr_b32 v[5:6], v75 offset0:55 offset1:160
	v_mad_co_u64_u32 v[0:1], null, 0xfffff074, s4, v[0:1]
	s_wait_dscnt 0x0
	v_lshrrev_b32_e32 v8, 16, v5
	s_wait_loadcnt 0x0
	v_lshrrev_b32_e32 v9, 16, v7
	s_delay_alu instid0(VALU_DEP_1) | instskip(SKIP_1) | instid1(VALU_DEP_2)
	v_mul_f16_e32 v10, v8, v9
	v_mul_f16_e32 v9, v5, v9
	v_fmac_f16_e32 v10, v5, v7
	s_delay_alu instid0(VALU_DEP_2) | instskip(NEXT) | instid1(VALU_DEP_2)
	v_fma_f16 v5, v7, v8, -v9
	v_cvt_f32_f16_e32 v7, v10
	s_delay_alu instid0(VALU_DEP_2) | instskip(NEXT) | instid1(VALU_DEP_2)
	v_cvt_f32_f16_e32 v5, v5
	v_cvt_f64_f32_e32 v[7:8], v7
	s_delay_alu instid0(VALU_DEP_2) | instskip(NEXT) | instid1(VALU_DEP_2)
	v_cvt_f64_f32_e32 v[9:10], v5
	v_mul_f64_e32 v[7:8], s[8:9], v[7:8]
	s_delay_alu instid0(VALU_DEP_2) | instskip(NEXT) | instid1(VALU_DEP_2)
	v_mul_f64_e32 v[9:10], s[8:9], v[9:10]
	v_and_or_b32 v5, 0x1ff, v8, v7
	s_delay_alu instid0(VALU_DEP_2)
	v_and_or_b32 v9, 0x1ff, v10, v9
	v_lshrrev_b32_e32 v7, 8, v8
	v_bfe_u32 v11, v8, 20, 11
	v_lshrrev_b32_e32 v12, 8, v10
	v_cmp_ne_u32_e32 vcc_lo, 0, v5
	v_bfe_u32 v13, v10, 20, 11
	v_lshrrev_b32_e32 v8, 16, v8
	v_sub_nc_u32_e32 v14, 0x3f1, v11
	v_add_nc_u32_e32 v11, 0xfffffc10, v11
	s_wait_alu 0xfffd
	v_cndmask_b32_e64 v5, 0, 1, vcc_lo
	v_cmp_ne_u32_e32 vcc_lo, 0, v9
	v_lshrrev_b32_e32 v10, 16, v10
	s_delay_alu instid0(VALU_DEP_3) | instskip(SKIP_4) | instid1(VALU_DEP_3)
	v_and_or_b32 v5, 0xffe, v7, v5
	s_wait_alu 0xfffd
	v_cndmask_b32_e64 v9, 0, 1, vcc_lo
	v_sub_nc_u32_e32 v7, 0x3f1, v13
	v_add_nc_u32_e32 v13, 0xfffffc10, v13
	v_and_or_b32 v9, 0xffe, v12, v9
	v_med3_i32 v12, v14, 0, 13
	v_or_b32_e32 v14, 0x1000, v5
	v_med3_i32 v7, v7, 0, 13
	s_delay_alu instid0(VALU_DEP_4) | instskip(NEXT) | instid1(VALU_DEP_3)
	v_or_b32_e32 v15, 0x1000, v9
	v_lshrrev_b32_e32 v16, v12, v14
	s_delay_alu instid0(VALU_DEP_2) | instskip(NEXT) | instid1(VALU_DEP_2)
	v_lshrrev_b32_e32 v17, v7, v15
	v_lshlrev_b32_e32 v12, v12, v16
	s_delay_alu instid0(VALU_DEP_1) | instskip(SKIP_3) | instid1(VALU_DEP_1)
	v_cmp_ne_u32_e32 vcc_lo, v12, v14
	v_lshl_or_b32 v14, v11, 12, v5
	s_wait_alu 0xfffd
	v_cndmask_b32_e64 v12, 0, 1, vcc_lo
	v_or_b32_e32 v12, v16, v12
	v_lshlrev_b32_e32 v7, v7, v17
	s_delay_alu instid0(VALU_DEP_1) | instskip(SKIP_4) | instid1(VALU_DEP_2)
	v_cmp_ne_u32_e32 vcc_lo, v7, v15
	v_lshl_or_b32 v15, v13, 12, v9
	s_wait_alu 0xfffd
	v_cndmask_b32_e64 v7, 0, 1, vcc_lo
	v_cmp_gt_i32_e32 vcc_lo, 1, v11
	v_or_b32_e32 v7, v17, v7
	s_wait_alu 0xfffd
	v_cndmask_b32_e32 v12, v14, v12, vcc_lo
	v_cmp_gt_i32_e32 vcc_lo, 1, v13
	s_wait_alu 0xfffd
	s_delay_alu instid0(VALU_DEP_2) | instskip(SKIP_2) | instid1(VALU_DEP_3)
	v_dual_cndmask_b32 v7, v15, v7 :: v_dual_and_b32 v14, 7, v12
	v_cmp_ne_u32_e32 vcc_lo, 0, v5
	v_lshrrev_b32_e32 v12, 2, v12
	v_cmp_eq_u32_e64 s0, 3, v14
	s_wait_alu 0xfffd
	v_cndmask_b32_e64 v5, 0, 1, vcc_lo
	v_cmp_ne_u32_e32 vcc_lo, 0, v9
	s_delay_alu instid0(VALU_DEP_2) | instskip(SKIP_3) | instid1(VALU_DEP_2)
	v_lshl_or_b32 v5, v5, 9, 0x7c00
	s_wait_alu 0xfffd
	v_cndmask_b32_e64 v9, 0, 1, vcc_lo
	v_cmp_lt_i32_e32 vcc_lo, 5, v14
	v_lshl_or_b32 v9, v9, 9, 0x7c00
	s_or_b32 vcc_lo, s0, vcc_lo
	s_mul_i32 s0, s5, 0xfffff074
	s_wait_alu 0xfffe
	v_add_co_ci_u32_e32 v12, vcc_lo, 0, v12, vcc_lo
	v_and_b32_e32 v15, 7, v7
	v_lshrrev_b32_e32 v7, 2, v7
	s_sub_co_i32 s0, s0, s4
	s_wait_alu 0xfffe
	v_add_nc_u32_e32 v1, s0, v1
	v_cmp_lt_i32_e64 s1, 5, v15
	v_cmp_eq_u32_e64 s2, 3, v15
	s_delay_alu instid0(VALU_DEP_1)
	s_or_b32 vcc_lo, s2, s1
	s_wait_alu 0xfffe
	v_add_co_ci_u32_e32 v7, vcc_lo, 0, v7, vcc_lo
	v_cmp_gt_i32_e32 vcc_lo, 31, v11
	s_wait_alu 0xfffd
	v_cndmask_b32_e32 v12, 0x7c00, v12, vcc_lo
	v_cmp_gt_i32_e32 vcc_lo, 31, v13
	s_wait_alu 0xfffd
	v_cndmask_b32_e32 v7, 0x7c00, v7, vcc_lo
	v_cmp_eq_u32_e32 vcc_lo, 0x40f, v11
	s_wait_alu 0xfffd
	v_cndmask_b32_e32 v5, v12, v5, vcc_lo
	v_cmp_eq_u32_e32 vcc_lo, 0x40f, v13
	s_delay_alu instid0(VALU_DEP_2) | instskip(SKIP_2) | instid1(VALU_DEP_2)
	v_and_or_b32 v5, 0x8000, v8, v5
	s_wait_alu 0xfffd
	v_cndmask_b32_e32 v7, v7, v9, vcc_lo
	v_and_b32_e32 v5, 0xffff, v5
	s_delay_alu instid0(VALU_DEP_2) | instskip(NEXT) | instid1(VALU_DEP_1)
	v_and_or_b32 v7, 0x8000, v10, v7
	v_lshl_or_b32 v5, v7, 16, v5
	v_lshrrev_b32_e32 v7, 16, v6
	global_store_b32 v[0:1], v5, off
	global_load_b32 v5, v[28:29], off offset:640
	s_wait_loadcnt 0x0
	v_lshrrev_b32_e32 v8, 16, v5
	s_delay_alu instid0(VALU_DEP_1) | instskip(SKIP_1) | instid1(VALU_DEP_2)
	v_mul_f16_e32 v9, v7, v8
	v_mul_f16_e32 v8, v6, v8
	v_fmac_f16_e32 v9, v6, v5
	s_delay_alu instid0(VALU_DEP_2) | instskip(NEXT) | instid1(VALU_DEP_2)
	v_fma_f16 v5, v5, v7, -v8
	v_cvt_f32_f16_e32 v6, v9
	s_delay_alu instid0(VALU_DEP_2) | instskip(NEXT) | instid1(VALU_DEP_2)
	v_cvt_f32_f16_e32 v7, v5
	v_cvt_f64_f32_e32 v[5:6], v6
	s_delay_alu instid0(VALU_DEP_2) | instskip(NEXT) | instid1(VALU_DEP_2)
	v_cvt_f64_f32_e32 v[7:8], v7
	v_mul_f64_e32 v[5:6], s[8:9], v[5:6]
	s_delay_alu instid0(VALU_DEP_2) | instskip(NEXT) | instid1(VALU_DEP_2)
	v_mul_f64_e32 v[7:8], s[8:9], v[7:8]
	v_and_or_b32 v5, 0x1ff, v6, v5
	s_delay_alu instid0(VALU_DEP_2)
	v_and_or_b32 v7, 0x1ff, v8, v7
	v_lshrrev_b32_e32 v9, 8, v6
	v_bfe_u32 v10, v6, 20, 11
	v_lshrrev_b32_e32 v11, 8, v8
	v_cmp_ne_u32_e32 vcc_lo, 0, v5
	v_bfe_u32 v12, v8, 20, 11
	v_lshrrev_b32_e32 v6, 16, v6
	v_sub_nc_u32_e32 v13, 0x3f1, v10
	v_add_nc_u32_e32 v10, 0xfffffc10, v10
	s_wait_alu 0xfffd
	v_cndmask_b32_e64 v5, 0, 1, vcc_lo
	v_cmp_ne_u32_e32 vcc_lo, 0, v7
	v_lshrrev_b32_e32 v8, 16, v8
	s_delay_alu instid0(VALU_DEP_3) | instskip(SKIP_4) | instid1(VALU_DEP_3)
	v_and_or_b32 v5, 0xffe, v9, v5
	s_wait_alu 0xfffd
	v_cndmask_b32_e64 v7, 0, 1, vcc_lo
	v_sub_nc_u32_e32 v9, 0x3f1, v12
	v_add_nc_u32_e32 v12, 0xfffffc10, v12
	v_and_or_b32 v7, 0xffe, v11, v7
	v_med3_i32 v11, v13, 0, 13
	v_or_b32_e32 v13, 0x1000, v5
	v_med3_i32 v9, v9, 0, 13
	s_delay_alu instid0(VALU_DEP_4) | instskip(NEXT) | instid1(VALU_DEP_3)
	v_or_b32_e32 v14, 0x1000, v7
	v_lshrrev_b32_e32 v15, v11, v13
	s_delay_alu instid0(VALU_DEP_2) | instskip(NEXT) | instid1(VALU_DEP_2)
	v_lshrrev_b32_e32 v16, v9, v14
	v_lshlrev_b32_e32 v11, v11, v15
	s_delay_alu instid0(VALU_DEP_2) | instskip(NEXT) | instid1(VALU_DEP_2)
	v_lshlrev_b32_e32 v9, v9, v16
	v_cmp_ne_u32_e32 vcc_lo, v11, v13
	v_lshl_or_b32 v13, v10, 12, v5
	s_wait_alu 0xfffd
	v_cndmask_b32_e64 v11, 0, 1, vcc_lo
	v_cmp_ne_u32_e32 vcc_lo, v9, v14
	v_lshl_or_b32 v14, v12, 12, v7
	s_delay_alu instid0(VALU_DEP_3) | instskip(SKIP_3) | instid1(VALU_DEP_2)
	v_or_b32_e32 v11, v15, v11
	s_wait_alu 0xfffd
	v_cndmask_b32_e64 v9, 0, 1, vcc_lo
	v_cmp_gt_i32_e32 vcc_lo, 1, v10
	v_or_b32_e32 v9, v16, v9
	s_wait_alu 0xfffd
	v_cndmask_b32_e32 v11, v13, v11, vcc_lo
	v_cmp_gt_i32_e32 vcc_lo, 1, v12
	s_wait_alu 0xfffd
	v_cndmask_b32_e32 v9, v14, v9, vcc_lo
	v_cmp_ne_u32_e32 vcc_lo, 0, v5
	s_delay_alu instid0(VALU_DEP_2)
	v_and_b32_e32 v14, 7, v9
	s_wait_alu 0xfffd
	v_cndmask_b32_e64 v5, 0, 1, vcc_lo
	v_and_b32_e32 v13, 7, v11
	v_cmp_ne_u32_e32 vcc_lo, 0, v7
	v_lshrrev_b32_e32 v11, 2, v11
	v_cmp_lt_i32_e64 s1, 5, v14
	v_cmp_eq_u32_e64 s2, 3, v14
	v_cmp_eq_u32_e64 s0, 3, v13
	s_wait_alu 0xfffd
	v_cndmask_b32_e64 v7, 0, 1, vcc_lo
	v_cmp_lt_i32_e32 vcc_lo, 5, v13
	v_lshrrev_b32_e32 v9, 2, v9
	v_lshl_or_b32 v5, v5, 9, 0x7c00
	s_delay_alu instid0(VALU_DEP_4)
	v_lshl_or_b32 v7, v7, 9, 0x7c00
	s_or_b32 vcc_lo, s0, vcc_lo
	s_wait_alu 0xfffe
	v_add_co_ci_u32_e32 v11, vcc_lo, 0, v11, vcc_lo
	s_or_b32 vcc_lo, s2, s1
	s_wait_alu 0xfffe
	v_add_co_ci_u32_e32 v9, vcc_lo, 0, v9, vcc_lo
	v_cmp_gt_i32_e32 vcc_lo, 31, v10
	s_wait_alu 0xfffd
	v_cndmask_b32_e32 v11, 0x7c00, v11, vcc_lo
	v_cmp_gt_i32_e32 vcc_lo, 31, v12
	s_wait_alu 0xfffd
	v_cndmask_b32_e32 v9, 0x7c00, v9, vcc_lo
	v_cmp_eq_u32_e32 vcc_lo, 0x40f, v10
	s_wait_alu 0xfffd
	v_cndmask_b32_e32 v5, v11, v5, vcc_lo
	v_cmp_eq_u32_e32 vcc_lo, 0x40f, v12
	s_delay_alu instid0(VALU_DEP_2)
	v_and_or_b32 v5, 0x8000, v6, v5
	s_wait_alu 0xfffd
	v_cndmask_b32_e32 v7, v9, v7, vcc_lo
	v_add_co_u32 v0, vcc_lo, v0, s6
	s_wait_alu 0xfffd
	v_add_co_ci_u32_e32 v1, vcc_lo, s7, v1, vcc_lo
	s_delay_alu instid0(VALU_DEP_3) | instskip(SKIP_1) | instid1(VALU_DEP_1)
	v_and_or_b32 v6, 0x8000, v8, v7
	v_and_b32_e32 v5, 0xffff, v5
	v_lshl_or_b32 v5, v6, 16, v5
	global_store_b32 v[0:1], v5, off
	global_load_b32 v7, v[28:29], off offset:1060
	ds_load_2addr_b32 v[5:6], v3 offset0:9 offset1:114
	s_wait_dscnt 0x0
	v_lshrrev_b32_e32 v3, 16, v5
	s_wait_loadcnt 0x0
	v_lshrrev_b32_e32 v8, 16, v7
	s_delay_alu instid0(VALU_DEP_1) | instskip(SKIP_1) | instid1(VALU_DEP_2)
	v_mul_f16_e32 v9, v3, v8
	v_mul_f16_e32 v8, v5, v8
	v_fmac_f16_e32 v9, v5, v7
	s_delay_alu instid0(VALU_DEP_2) | instskip(NEXT) | instid1(VALU_DEP_2)
	v_fma_f16 v3, v7, v3, -v8
	v_cvt_f32_f16_e32 v5, v9
	s_delay_alu instid0(VALU_DEP_2) | instskip(NEXT) | instid1(VALU_DEP_2)
	v_cvt_f32_f16_e32 v3, v3
	v_cvt_f64_f32_e32 v[7:8], v5
	s_delay_alu instid0(VALU_DEP_2) | instskip(NEXT) | instid1(VALU_DEP_2)
	v_cvt_f64_f32_e32 v[9:10], v3
	v_mul_f64_e32 v[7:8], s[8:9], v[7:8]
	s_delay_alu instid0(VALU_DEP_2) | instskip(NEXT) | instid1(VALU_DEP_2)
	v_mul_f64_e32 v[9:10], s[8:9], v[9:10]
	v_and_or_b32 v3, 0x1ff, v8, v7
	s_delay_alu instid0(VALU_DEP_2)
	v_and_or_b32 v9, 0x1ff, v10, v9
	v_lshrrev_b32_e32 v5, 8, v8
	v_bfe_u32 v7, v8, 20, 11
	v_lshrrev_b32_e32 v11, 8, v10
	v_cmp_ne_u32_e32 vcc_lo, 0, v3
	v_bfe_u32 v12, v10, 20, 11
	v_lshrrev_b32_e32 v8, 16, v8
	v_sub_nc_u32_e32 v13, 0x3f1, v7
	v_add_nc_u32_e32 v7, 0xfffffc10, v7
	s_wait_alu 0xfffd
	v_cndmask_b32_e64 v3, 0, 1, vcc_lo
	v_cmp_ne_u32_e32 vcc_lo, 0, v9
	s_delay_alu instid0(VALU_DEP_2) | instskip(SKIP_4) | instid1(VALU_DEP_3)
	v_and_or_b32 v3, 0xffe, v5, v3
	s_wait_alu 0xfffd
	v_cndmask_b32_e64 v9, 0, 1, vcc_lo
	v_sub_nc_u32_e32 v5, 0x3f1, v12
	v_add_nc_u32_e32 v12, 0xfffffc10, v12
	v_and_or_b32 v9, 0xffe, v11, v9
	v_med3_i32 v11, v13, 0, 13
	v_or_b32_e32 v13, 0x1000, v3
	v_med3_i32 v5, v5, 0, 13
	s_delay_alu instid0(VALU_DEP_4) | instskip(NEXT) | instid1(VALU_DEP_3)
	v_or_b32_e32 v14, 0x1000, v9
	v_lshrrev_b32_e32 v15, v11, v13
	s_delay_alu instid0(VALU_DEP_2) | instskip(NEXT) | instid1(VALU_DEP_2)
	v_lshrrev_b32_e32 v16, v5, v14
	v_lshlrev_b32_e32 v11, v11, v15
	s_delay_alu instid0(VALU_DEP_2) | instskip(NEXT) | instid1(VALU_DEP_2)
	v_lshlrev_b32_e32 v5, v5, v16
	v_cmp_ne_u32_e32 vcc_lo, v11, v13
	v_lshl_or_b32 v13, v7, 12, v3
	s_wait_alu 0xfffd
	v_cndmask_b32_e64 v11, 0, 1, vcc_lo
	v_cmp_ne_u32_e32 vcc_lo, v5, v14
	v_lshl_or_b32 v14, v12, 12, v9
	s_delay_alu instid0(VALU_DEP_3) | instskip(SKIP_3) | instid1(VALU_DEP_2)
	v_or_b32_e32 v11, v15, v11
	s_wait_alu 0xfffd
	v_cndmask_b32_e64 v5, 0, 1, vcc_lo
	v_cmp_gt_i32_e32 vcc_lo, 1, v7
	v_or_b32_e32 v5, v16, v5
	s_wait_alu 0xfffd
	v_cndmask_b32_e32 v11, v13, v11, vcc_lo
	v_cmp_gt_i32_e32 vcc_lo, 1, v12
	s_delay_alu instid0(VALU_DEP_2)
	v_and_b32_e32 v13, 7, v11
	s_wait_alu 0xfffd
	v_cndmask_b32_e32 v5, v14, v5, vcc_lo
	v_cmp_ne_u32_e32 vcc_lo, 0, v3
	v_lshrrev_b32_e32 v11, 2, v11
	v_cmp_eq_u32_e64 s0, 3, v13
	s_delay_alu instid0(VALU_DEP_4)
	v_and_b32_e32 v14, 7, v5
	s_wait_alu 0xfffd
	v_cndmask_b32_e64 v3, 0, 1, vcc_lo
	v_cmp_ne_u32_e32 vcc_lo, 0, v9
	v_lshrrev_b32_e32 v5, 2, v5
	v_cmp_lt_i32_e64 s1, 5, v14
	v_cmp_eq_u32_e64 s2, 3, v14
	s_wait_alu 0xfffd
	v_cndmask_b32_e64 v9, 0, 1, vcc_lo
	v_cmp_lt_i32_e32 vcc_lo, 5, v13
	v_lshl_or_b32 v3, v3, 9, 0x7c00
	s_delay_alu instid0(VALU_DEP_3)
	v_lshl_or_b32 v9, v9, 9, 0x7c00
	s_or_b32 vcc_lo, s0, vcc_lo
	s_wait_alu 0xfffe
	v_add_co_ci_u32_e32 v11, vcc_lo, 0, v11, vcc_lo
	s_or_b32 vcc_lo, s2, s1
	s_wait_alu 0xfffe
	v_add_co_ci_u32_e32 v5, vcc_lo, 0, v5, vcc_lo
	v_cmp_gt_i32_e32 vcc_lo, 31, v7
	s_wait_alu 0xfffd
	v_cndmask_b32_e32 v11, 0x7c00, v11, vcc_lo
	v_cmp_gt_i32_e32 vcc_lo, 31, v12
	s_wait_alu 0xfffd
	v_cndmask_b32_e32 v5, 0x7c00, v5, vcc_lo
	v_cmp_eq_u32_e32 vcc_lo, 0x40f, v7
	v_lshrrev_b32_e32 v7, 16, v10
	s_wait_alu 0xfffd
	v_cndmask_b32_e32 v3, v11, v3, vcc_lo
	v_cmp_eq_u32_e32 vcc_lo, 0x40f, v12
	s_delay_alu instid0(VALU_DEP_2)
	v_and_or_b32 v3, 0x8000, v8, v3
	s_wait_alu 0xfffd
	v_cndmask_b32_e32 v5, v5, v9, vcc_lo
	v_add_co_u32 v0, vcc_lo, v0, s6
	s_wait_alu 0xfffd
	v_add_co_ci_u32_e32 v1, vcc_lo, s7, v1, vcc_lo
	s_delay_alu instid0(VALU_DEP_3) | instskip(SKIP_1) | instid1(VALU_DEP_1)
	v_and_or_b32 v5, 0x8000, v7, v5
	v_and_b32_e32 v3, 0xffff, v3
	v_lshl_or_b32 v3, v5, 16, v3
	v_lshrrev_b32_e32 v5, 16, v6
	global_store_b32 v[0:1], v3, off
	global_load_b32 v3, v[28:29], off offset:1480
	s_wait_loadcnt 0x0
	v_lshrrev_b32_e32 v7, 16, v3
	s_delay_alu instid0(VALU_DEP_1) | instskip(SKIP_1) | instid1(VALU_DEP_2)
	v_mul_f16_e32 v8, v5, v7
	v_mul_f16_e32 v7, v6, v7
	v_fmac_f16_e32 v8, v6, v3
	s_delay_alu instid0(VALU_DEP_2) | instskip(NEXT) | instid1(VALU_DEP_2)
	v_fma_f16 v3, v3, v5, -v7
	v_cvt_f32_f16_e32 v5, v8
	s_delay_alu instid0(VALU_DEP_2) | instskip(NEXT) | instid1(VALU_DEP_2)
	v_cvt_f32_f16_e32 v3, v3
	v_cvt_f64_f32_e32 v[5:6], v5
	s_delay_alu instid0(VALU_DEP_2) | instskip(NEXT) | instid1(VALU_DEP_2)
	v_cvt_f64_f32_e32 v[7:8], v3
	v_mul_f64_e32 v[5:6], s[8:9], v[5:6]
	s_delay_alu instid0(VALU_DEP_2) | instskip(NEXT) | instid1(VALU_DEP_2)
	v_mul_f64_e32 v[7:8], s[8:9], v[7:8]
	v_and_or_b32 v3, 0x1ff, v6, v5
	s_delay_alu instid0(VALU_DEP_2)
	v_and_or_b32 v7, 0x1ff, v8, v7
	v_lshrrev_b32_e32 v5, 8, v6
	v_bfe_u32 v9, v6, 20, 11
	v_lshrrev_b32_e32 v10, 8, v8
	v_cmp_ne_u32_e32 vcc_lo, 0, v3
	v_bfe_u32 v11, v8, 20, 11
	v_lshrrev_b32_e32 v6, 16, v6
	v_sub_nc_u32_e32 v12, 0x3f1, v9
	v_add_nc_u32_e32 v9, 0xfffffc10, v9
	s_wait_alu 0xfffd
	v_cndmask_b32_e64 v3, 0, 1, vcc_lo
	v_cmp_ne_u32_e32 vcc_lo, 0, v7
	v_lshrrev_b32_e32 v8, 16, v8
	s_delay_alu instid0(VALU_DEP_3) | instskip(SKIP_4) | instid1(VALU_DEP_3)
	v_and_or_b32 v3, 0xffe, v5, v3
	s_wait_alu 0xfffd
	v_cndmask_b32_e64 v7, 0, 1, vcc_lo
	v_sub_nc_u32_e32 v5, 0x3f1, v11
	v_add_nc_u32_e32 v11, 0xfffffc10, v11
	v_and_or_b32 v7, 0xffe, v10, v7
	v_med3_i32 v10, v12, 0, 13
	v_or_b32_e32 v12, 0x1000, v3
	v_med3_i32 v5, v5, 0, 13
	s_delay_alu instid0(VALU_DEP_4) | instskip(NEXT) | instid1(VALU_DEP_3)
	v_or_b32_e32 v13, 0x1000, v7
	v_lshrrev_b32_e32 v14, v10, v12
	s_delay_alu instid0(VALU_DEP_2) | instskip(NEXT) | instid1(VALU_DEP_2)
	v_lshrrev_b32_e32 v15, v5, v13
	v_lshlrev_b32_e32 v10, v10, v14
	s_delay_alu instid0(VALU_DEP_2) | instskip(NEXT) | instid1(VALU_DEP_2)
	v_lshlrev_b32_e32 v5, v5, v15
	v_cmp_ne_u32_e32 vcc_lo, v10, v12
	v_lshl_or_b32 v12, v9, 12, v3
	s_wait_alu 0xfffd
	v_cndmask_b32_e64 v10, 0, 1, vcc_lo
	v_cmp_ne_u32_e32 vcc_lo, v5, v13
	v_lshl_or_b32 v13, v11, 12, v7
	s_delay_alu instid0(VALU_DEP_3) | instskip(SKIP_3) | instid1(VALU_DEP_2)
	v_or_b32_e32 v10, v14, v10
	s_wait_alu 0xfffd
	v_cndmask_b32_e64 v5, 0, 1, vcc_lo
	v_cmp_gt_i32_e32 vcc_lo, 1, v9
	v_or_b32_e32 v5, v15, v5
	s_wait_alu 0xfffd
	v_cndmask_b32_e32 v10, v12, v10, vcc_lo
	v_cmp_gt_i32_e32 vcc_lo, 1, v11
	s_wait_alu 0xfffd
	s_delay_alu instid0(VALU_DEP_2) | instskip(SKIP_2) | instid1(VALU_DEP_3)
	v_dual_cndmask_b32 v5, v13, v5 :: v_dual_and_b32 v12, 7, v10
	v_cmp_ne_u32_e32 vcc_lo, 0, v3
	v_lshrrev_b32_e32 v10, 2, v10
	v_cmp_eq_u32_e64 s0, 3, v12
	s_delay_alu instid0(VALU_DEP_4)
	v_and_b32_e32 v13, 7, v5
	s_wait_alu 0xfffd
	v_cndmask_b32_e64 v3, 0, 1, vcc_lo
	v_cmp_ne_u32_e32 vcc_lo, 0, v7
	v_lshrrev_b32_e32 v5, 2, v5
	v_cmp_lt_i32_e64 s1, 5, v13
	v_cmp_eq_u32_e64 s2, 3, v13
	s_wait_alu 0xfffd
	v_cndmask_b32_e64 v7, 0, 1, vcc_lo
	v_cmp_lt_i32_e32 vcc_lo, 5, v12
	v_lshl_or_b32 v3, v3, 9, 0x7c00
	s_delay_alu instid0(VALU_DEP_3)
	v_lshl_or_b32 v7, v7, 9, 0x7c00
	s_or_b32 vcc_lo, s0, vcc_lo
	s_wait_alu 0xfffe
	v_add_co_ci_u32_e32 v10, vcc_lo, 0, v10, vcc_lo
	s_or_b32 vcc_lo, s2, s1
	s_wait_alu 0xfffe
	v_add_co_ci_u32_e32 v5, vcc_lo, 0, v5, vcc_lo
	v_cmp_gt_i32_e32 vcc_lo, 31, v9
	s_wait_alu 0xfffd
	v_cndmask_b32_e32 v10, 0x7c00, v10, vcc_lo
	v_cmp_gt_i32_e32 vcc_lo, 31, v11
	s_wait_alu 0xfffd
	v_cndmask_b32_e32 v5, 0x7c00, v5, vcc_lo
	v_cmp_eq_u32_e32 vcc_lo, 0x40f, v9
	s_wait_alu 0xfffd
	v_cndmask_b32_e32 v3, v10, v3, vcc_lo
	v_cmp_eq_u32_e32 vcc_lo, 0x40f, v11
	s_delay_alu instid0(VALU_DEP_2)
	v_and_or_b32 v3, 0x8000, v6, v3
	s_wait_alu 0xfffd
	v_cndmask_b32_e32 v5, v5, v7, vcc_lo
	v_add_co_u32 v0, vcc_lo, v0, s6
	s_wait_alu 0xfffd
	v_add_co_ci_u32_e32 v1, vcc_lo, s7, v1, vcc_lo
	s_delay_alu instid0(VALU_DEP_3) | instskip(SKIP_1) | instid1(VALU_DEP_1)
	v_and_or_b32 v5, 0x8000, v8, v5
	v_and_b32_e32 v3, 0xffff, v3
	v_lshl_or_b32 v3, v5, 16, v3
	global_store_b32 v[0:1], v3, off
	global_load_b32 v5, v[28:29], off offset:1900
	ds_load_2addr_b32 v[3:4], v4 offset0:91 offset1:196
	s_wait_dscnt 0x0
	v_lshrrev_b32_e32 v6, 16, v3
	s_wait_loadcnt 0x0
	v_lshrrev_b32_e32 v7, 16, v5
	s_delay_alu instid0(VALU_DEP_1) | instskip(SKIP_1) | instid1(VALU_DEP_2)
	v_mul_f16_e32 v8, v6, v7
	v_mul_f16_e32 v7, v3, v7
	v_fmac_f16_e32 v8, v3, v5
	s_delay_alu instid0(VALU_DEP_2) | instskip(NEXT) | instid1(VALU_DEP_2)
	v_fma_f16 v3, v5, v6, -v7
	v_cvt_f32_f16_e32 v5, v8
	s_delay_alu instid0(VALU_DEP_2) | instskip(NEXT) | instid1(VALU_DEP_2)
	v_cvt_f32_f16_e32 v3, v3
	v_cvt_f64_f32_e32 v[5:6], v5
	s_delay_alu instid0(VALU_DEP_2) | instskip(NEXT) | instid1(VALU_DEP_2)
	v_cvt_f64_f32_e32 v[7:8], v3
	v_mul_f64_e32 v[5:6], s[8:9], v[5:6]
	s_delay_alu instid0(VALU_DEP_2) | instskip(NEXT) | instid1(VALU_DEP_2)
	v_mul_f64_e32 v[7:8], s[8:9], v[7:8]
	v_and_or_b32 v3, 0x1ff, v6, v5
	s_delay_alu instid0(VALU_DEP_2)
	v_and_or_b32 v7, 0x1ff, v8, v7
	v_lshrrev_b32_e32 v5, 8, v6
	v_bfe_u32 v9, v6, 20, 11
	v_lshrrev_b32_e32 v10, 8, v8
	v_cmp_ne_u32_e32 vcc_lo, 0, v3
	v_bfe_u32 v11, v8, 20, 11
	v_lshrrev_b32_e32 v6, 16, v6
	v_sub_nc_u32_e32 v12, 0x3f1, v9
	v_add_nc_u32_e32 v9, 0xfffffc10, v9
	s_wait_alu 0xfffd
	v_cndmask_b32_e64 v3, 0, 1, vcc_lo
	v_cmp_ne_u32_e32 vcc_lo, 0, v7
	v_lshrrev_b32_e32 v8, 16, v8
	s_delay_alu instid0(VALU_DEP_3) | instskip(SKIP_4) | instid1(VALU_DEP_3)
	v_and_or_b32 v3, 0xffe, v5, v3
	s_wait_alu 0xfffd
	v_cndmask_b32_e64 v7, 0, 1, vcc_lo
	v_sub_nc_u32_e32 v5, 0x3f1, v11
	v_add_nc_u32_e32 v11, 0xfffffc10, v11
	v_and_or_b32 v7, 0xffe, v10, v7
	v_med3_i32 v10, v12, 0, 13
	v_or_b32_e32 v12, 0x1000, v3
	v_med3_i32 v5, v5, 0, 13
	s_delay_alu instid0(VALU_DEP_4) | instskip(NEXT) | instid1(VALU_DEP_3)
	v_or_b32_e32 v13, 0x1000, v7
	v_lshrrev_b32_e32 v14, v10, v12
	s_delay_alu instid0(VALU_DEP_2) | instskip(NEXT) | instid1(VALU_DEP_2)
	v_lshrrev_b32_e32 v15, v5, v13
	v_lshlrev_b32_e32 v10, v10, v14
	s_delay_alu instid0(VALU_DEP_2) | instskip(NEXT) | instid1(VALU_DEP_2)
	v_lshlrev_b32_e32 v5, v5, v15
	v_cmp_ne_u32_e32 vcc_lo, v10, v12
	v_lshl_or_b32 v12, v9, 12, v3
	s_wait_alu 0xfffd
	v_cndmask_b32_e64 v10, 0, 1, vcc_lo
	v_cmp_ne_u32_e32 vcc_lo, v5, v13
	v_lshl_or_b32 v13, v11, 12, v7
	s_delay_alu instid0(VALU_DEP_3) | instskip(SKIP_3) | instid1(VALU_DEP_2)
	v_or_b32_e32 v10, v14, v10
	s_wait_alu 0xfffd
	v_cndmask_b32_e64 v5, 0, 1, vcc_lo
	v_cmp_gt_i32_e32 vcc_lo, 1, v9
	v_or_b32_e32 v5, v15, v5
	s_wait_alu 0xfffd
	v_cndmask_b32_e32 v10, v12, v10, vcc_lo
	v_cmp_gt_i32_e32 vcc_lo, 1, v11
	s_wait_alu 0xfffd
	s_delay_alu instid0(VALU_DEP_2) | instskip(SKIP_2) | instid1(VALU_DEP_3)
	v_dual_cndmask_b32 v5, v13, v5 :: v_dual_and_b32 v12, 7, v10
	v_cmp_ne_u32_e32 vcc_lo, 0, v3
	v_lshrrev_b32_e32 v10, 2, v10
	v_cmp_eq_u32_e64 s0, 3, v12
	s_delay_alu instid0(VALU_DEP_4)
	v_and_b32_e32 v13, 7, v5
	s_wait_alu 0xfffd
	v_cndmask_b32_e64 v3, 0, 1, vcc_lo
	v_cmp_ne_u32_e32 vcc_lo, 0, v7
	v_lshrrev_b32_e32 v5, 2, v5
	v_cmp_lt_i32_e64 s1, 5, v13
	v_cmp_eq_u32_e64 s2, 3, v13
	s_wait_alu 0xfffd
	v_cndmask_b32_e64 v7, 0, 1, vcc_lo
	v_cmp_lt_i32_e32 vcc_lo, 5, v12
	v_lshl_or_b32 v3, v3, 9, 0x7c00
	s_delay_alu instid0(VALU_DEP_3)
	v_lshl_or_b32 v7, v7, 9, 0x7c00
	s_or_b32 vcc_lo, s0, vcc_lo
	s_wait_alu 0xfffe
	v_add_co_ci_u32_e32 v10, vcc_lo, 0, v10, vcc_lo
	s_or_b32 vcc_lo, s2, s1
	s_wait_alu 0xfffe
	v_add_co_ci_u32_e32 v5, vcc_lo, 0, v5, vcc_lo
	v_cmp_gt_i32_e32 vcc_lo, 31, v9
	s_wait_alu 0xfffd
	v_cndmask_b32_e32 v10, 0x7c00, v10, vcc_lo
	v_cmp_gt_i32_e32 vcc_lo, 31, v11
	s_wait_alu 0xfffd
	v_cndmask_b32_e32 v5, 0x7c00, v5, vcc_lo
	v_cmp_eq_u32_e32 vcc_lo, 0x40f, v9
	s_wait_alu 0xfffd
	v_cndmask_b32_e32 v3, v10, v3, vcc_lo
	v_cmp_eq_u32_e32 vcc_lo, 0x40f, v11
	s_delay_alu instid0(VALU_DEP_2)
	v_and_or_b32 v3, 0x8000, v6, v3
	s_wait_alu 0xfffd
	v_cndmask_b32_e32 v5, v5, v7, vcc_lo
	v_add_co_u32 v0, vcc_lo, v0, s6
	s_wait_alu 0xfffd
	v_add_co_ci_u32_e32 v1, vcc_lo, s7, v1, vcc_lo
	s_delay_alu instid0(VALU_DEP_3) | instskip(SKIP_1) | instid1(VALU_DEP_1)
	v_and_or_b32 v5, 0x8000, v8, v5
	v_and_b32_e32 v3, 0xffff, v3
	v_lshl_or_b32 v3, v5, 16, v3
	v_lshrrev_b32_e32 v5, 16, v4
	global_store_b32 v[0:1], v3, off
	global_load_b32 v3, v[28:29], off offset:2320
	s_wait_loadcnt 0x0
	v_lshrrev_b32_e32 v6, 16, v3
	s_delay_alu instid0(VALU_DEP_1) | instskip(SKIP_1) | instid1(VALU_DEP_2)
	v_mul_f16_e32 v7, v5, v6
	v_mul_f16_e32 v6, v4, v6
	v_fmac_f16_e32 v7, v4, v3
	s_delay_alu instid0(VALU_DEP_2) | instskip(NEXT) | instid1(VALU_DEP_2)
	v_fma_f16 v3, v3, v5, -v6
	v_cvt_f32_f16_e32 v4, v7
	s_delay_alu instid0(VALU_DEP_2) | instskip(NEXT) | instid1(VALU_DEP_2)
	v_cvt_f32_f16_e32 v5, v3
	v_cvt_f64_f32_e32 v[3:4], v4
	s_delay_alu instid0(VALU_DEP_2) | instskip(NEXT) | instid1(VALU_DEP_2)
	v_cvt_f64_f32_e32 v[5:6], v5
	v_mul_f64_e32 v[3:4], s[8:9], v[3:4]
	s_delay_alu instid0(VALU_DEP_2) | instskip(NEXT) | instid1(VALU_DEP_2)
	v_mul_f64_e32 v[5:6], s[8:9], v[5:6]
	v_and_or_b32 v3, 0x1ff, v4, v3
	s_delay_alu instid0(VALU_DEP_2)
	v_and_or_b32 v5, 0x1ff, v6, v5
	v_lshrrev_b32_e32 v7, 8, v4
	v_bfe_u32 v8, v4, 20, 11
	v_lshrrev_b32_e32 v9, 8, v6
	v_cmp_ne_u32_e32 vcc_lo, 0, v3
	v_bfe_u32 v10, v6, 20, 11
	v_lshrrev_b32_e32 v4, 16, v4
	v_sub_nc_u32_e32 v11, 0x3f1, v8
	v_add_nc_u32_e32 v8, 0xfffffc10, v8
	s_wait_alu 0xfffd
	v_cndmask_b32_e64 v3, 0, 1, vcc_lo
	v_cmp_ne_u32_e32 vcc_lo, 0, v5
	v_lshrrev_b32_e32 v6, 16, v6
	s_delay_alu instid0(VALU_DEP_3) | instskip(SKIP_4) | instid1(VALU_DEP_3)
	v_and_or_b32 v3, 0xffe, v7, v3
	s_wait_alu 0xfffd
	v_cndmask_b32_e64 v5, 0, 1, vcc_lo
	v_sub_nc_u32_e32 v7, 0x3f1, v10
	v_add_nc_u32_e32 v10, 0xfffffc10, v10
	v_and_or_b32 v5, 0xffe, v9, v5
	v_med3_i32 v9, v11, 0, 13
	v_or_b32_e32 v11, 0x1000, v3
	v_med3_i32 v7, v7, 0, 13
	s_delay_alu instid0(VALU_DEP_4) | instskip(NEXT) | instid1(VALU_DEP_3)
	v_or_b32_e32 v12, 0x1000, v5
	v_lshrrev_b32_e32 v13, v9, v11
	s_delay_alu instid0(VALU_DEP_2) | instskip(NEXT) | instid1(VALU_DEP_2)
	v_lshrrev_b32_e32 v14, v7, v12
	v_lshlrev_b32_e32 v9, v9, v13
	s_delay_alu instid0(VALU_DEP_2) | instskip(NEXT) | instid1(VALU_DEP_2)
	v_lshlrev_b32_e32 v7, v7, v14
	v_cmp_ne_u32_e32 vcc_lo, v9, v11
	v_lshl_or_b32 v11, v8, 12, v3
	s_wait_alu 0xfffd
	v_cndmask_b32_e64 v9, 0, 1, vcc_lo
	v_cmp_ne_u32_e32 vcc_lo, v7, v12
	v_lshl_or_b32 v12, v10, 12, v5
	s_delay_alu instid0(VALU_DEP_3) | instskip(SKIP_3) | instid1(VALU_DEP_2)
	v_or_b32_e32 v9, v13, v9
	s_wait_alu 0xfffd
	v_cndmask_b32_e64 v7, 0, 1, vcc_lo
	v_cmp_gt_i32_e32 vcc_lo, 1, v8
	v_or_b32_e32 v7, v14, v7
	s_wait_alu 0xfffd
	v_cndmask_b32_e32 v9, v11, v9, vcc_lo
	v_cmp_gt_i32_e32 vcc_lo, 1, v10
	s_delay_alu instid0(VALU_DEP_2)
	v_and_b32_e32 v11, 7, v9
	s_wait_alu 0xfffd
	v_cndmask_b32_e32 v7, v12, v7, vcc_lo
	v_cmp_ne_u32_e32 vcc_lo, 0, v3
	v_lshrrev_b32_e32 v9, 2, v9
	v_cmp_eq_u32_e64 s0, 3, v11
	s_delay_alu instid0(VALU_DEP_4)
	v_and_b32_e32 v12, 7, v7
	s_wait_alu 0xfffd
	v_cndmask_b32_e64 v3, 0, 1, vcc_lo
	v_cmp_ne_u32_e32 vcc_lo, 0, v5
	v_lshrrev_b32_e32 v7, 2, v7
	v_cmp_lt_i32_e64 s1, 5, v12
	v_cmp_eq_u32_e64 s2, 3, v12
	s_wait_alu 0xfffd
	v_cndmask_b32_e64 v5, 0, 1, vcc_lo
	v_cmp_lt_i32_e32 vcc_lo, 5, v11
	v_lshl_or_b32 v3, v3, 9, 0x7c00
	s_delay_alu instid0(VALU_DEP_3)
	v_lshl_or_b32 v5, v5, 9, 0x7c00
	s_or_b32 vcc_lo, s0, vcc_lo
	s_wait_alu 0xfffe
	v_add_co_ci_u32_e32 v9, vcc_lo, 0, v9, vcc_lo
	s_or_b32 vcc_lo, s2, s1
	s_wait_alu 0xfffe
	v_add_co_ci_u32_e32 v7, vcc_lo, 0, v7, vcc_lo
	v_cmp_gt_i32_e32 vcc_lo, 31, v8
	s_wait_alu 0xfffd
	v_cndmask_b32_e32 v9, 0x7c00, v9, vcc_lo
	v_cmp_gt_i32_e32 vcc_lo, 31, v10
	s_wait_alu 0xfffd
	v_cndmask_b32_e32 v7, 0x7c00, v7, vcc_lo
	v_cmp_eq_u32_e32 vcc_lo, 0x40f, v8
	s_wait_alu 0xfffd
	v_cndmask_b32_e32 v3, v9, v3, vcc_lo
	v_cmp_eq_u32_e32 vcc_lo, 0x40f, v10
	s_delay_alu instid0(VALU_DEP_2)
	v_and_or_b32 v3, 0x8000, v4, v3
	s_wait_alu 0xfffd
	v_cndmask_b32_e32 v5, v7, v5, vcc_lo
	v_add_co_u32 v0, vcc_lo, v0, s6
	s_wait_alu 0xfffd
	v_add_co_ci_u32_e32 v1, vcc_lo, s7, v1, vcc_lo
	s_delay_alu instid0(VALU_DEP_3) | instskip(SKIP_1) | instid1(VALU_DEP_1)
	v_and_or_b32 v4, 0x8000, v6, v5
	v_and_b32_e32 v3, 0xffff, v3
	v_lshl_or_b32 v3, v4, 16, v3
	global_store_b32 v[0:1], v3, off
	global_load_b32 v5, v[28:29], off offset:2740
	v_add_nc_u32_e32 v3, 0xa00, v75
	ds_load_2addr_b32 v[3:4], v3 offset0:45 offset1:150
	s_wait_dscnt 0x0
	v_lshrrev_b32_e32 v6, 16, v3
	s_wait_loadcnt 0x0
	v_lshrrev_b32_e32 v7, 16, v5
	s_delay_alu instid0(VALU_DEP_1) | instskip(SKIP_1) | instid1(VALU_DEP_2)
	v_mul_f16_e32 v8, v6, v7
	v_mul_f16_e32 v7, v3, v7
	v_fmac_f16_e32 v8, v3, v5
	s_delay_alu instid0(VALU_DEP_2) | instskip(NEXT) | instid1(VALU_DEP_2)
	v_fma_f16 v3, v5, v6, -v7
	v_cvt_f32_f16_e32 v5, v8
	s_delay_alu instid0(VALU_DEP_2) | instskip(NEXT) | instid1(VALU_DEP_2)
	v_cvt_f32_f16_e32 v3, v3
	v_cvt_f64_f32_e32 v[5:6], v5
	s_delay_alu instid0(VALU_DEP_2) | instskip(NEXT) | instid1(VALU_DEP_2)
	v_cvt_f64_f32_e32 v[7:8], v3
	v_mul_f64_e32 v[5:6], s[8:9], v[5:6]
	s_delay_alu instid0(VALU_DEP_2) | instskip(NEXT) | instid1(VALU_DEP_2)
	v_mul_f64_e32 v[7:8], s[8:9], v[7:8]
	v_and_or_b32 v3, 0x1ff, v6, v5
	s_delay_alu instid0(VALU_DEP_2)
	v_and_or_b32 v7, 0x1ff, v8, v7
	v_lshrrev_b32_e32 v5, 8, v6
	v_bfe_u32 v9, v6, 20, 11
	v_lshrrev_b32_e32 v10, 8, v8
	v_cmp_ne_u32_e32 vcc_lo, 0, v3
	v_bfe_u32 v11, v8, 20, 11
	v_lshrrev_b32_e32 v6, 16, v6
	v_sub_nc_u32_e32 v12, 0x3f1, v9
	v_add_nc_u32_e32 v9, 0xfffffc10, v9
	s_wait_alu 0xfffd
	v_cndmask_b32_e64 v3, 0, 1, vcc_lo
	v_cmp_ne_u32_e32 vcc_lo, 0, v7
	v_lshrrev_b32_e32 v8, 16, v8
	s_delay_alu instid0(VALU_DEP_3) | instskip(SKIP_4) | instid1(VALU_DEP_3)
	v_and_or_b32 v3, 0xffe, v5, v3
	s_wait_alu 0xfffd
	v_cndmask_b32_e64 v7, 0, 1, vcc_lo
	v_sub_nc_u32_e32 v5, 0x3f1, v11
	v_add_nc_u32_e32 v11, 0xfffffc10, v11
	v_and_or_b32 v7, 0xffe, v10, v7
	v_med3_i32 v10, v12, 0, 13
	v_or_b32_e32 v12, 0x1000, v3
	v_med3_i32 v5, v5, 0, 13
	s_delay_alu instid0(VALU_DEP_4) | instskip(NEXT) | instid1(VALU_DEP_3)
	v_or_b32_e32 v13, 0x1000, v7
	v_lshrrev_b32_e32 v14, v10, v12
	s_delay_alu instid0(VALU_DEP_2) | instskip(NEXT) | instid1(VALU_DEP_2)
	v_lshrrev_b32_e32 v15, v5, v13
	v_lshlrev_b32_e32 v10, v10, v14
	s_delay_alu instid0(VALU_DEP_2) | instskip(NEXT) | instid1(VALU_DEP_2)
	v_lshlrev_b32_e32 v5, v5, v15
	v_cmp_ne_u32_e32 vcc_lo, v10, v12
	v_lshl_or_b32 v12, v9, 12, v3
	s_wait_alu 0xfffd
	v_cndmask_b32_e64 v10, 0, 1, vcc_lo
	v_cmp_ne_u32_e32 vcc_lo, v5, v13
	v_lshl_or_b32 v13, v11, 12, v7
	s_delay_alu instid0(VALU_DEP_3) | instskip(SKIP_3) | instid1(VALU_DEP_2)
	v_or_b32_e32 v10, v14, v10
	s_wait_alu 0xfffd
	v_cndmask_b32_e64 v5, 0, 1, vcc_lo
	v_cmp_gt_i32_e32 vcc_lo, 1, v9
	v_or_b32_e32 v5, v15, v5
	s_wait_alu 0xfffd
	v_cndmask_b32_e32 v10, v12, v10, vcc_lo
	v_cmp_gt_i32_e32 vcc_lo, 1, v11
	s_wait_alu 0xfffd
	s_delay_alu instid0(VALU_DEP_2) | instskip(SKIP_2) | instid1(VALU_DEP_3)
	v_dual_cndmask_b32 v5, v13, v5 :: v_dual_and_b32 v12, 7, v10
	v_cmp_ne_u32_e32 vcc_lo, 0, v3
	v_lshrrev_b32_e32 v10, 2, v10
	v_cmp_eq_u32_e64 s0, 3, v12
	s_delay_alu instid0(VALU_DEP_4)
	v_and_b32_e32 v13, 7, v5
	s_wait_alu 0xfffd
	v_cndmask_b32_e64 v3, 0, 1, vcc_lo
	v_cmp_ne_u32_e32 vcc_lo, 0, v7
	v_lshrrev_b32_e32 v5, 2, v5
	v_cmp_lt_i32_e64 s1, 5, v13
	v_cmp_eq_u32_e64 s2, 3, v13
	s_wait_alu 0xfffd
	v_cndmask_b32_e64 v7, 0, 1, vcc_lo
	v_cmp_lt_i32_e32 vcc_lo, 5, v12
	v_lshl_or_b32 v3, v3, 9, 0x7c00
	s_delay_alu instid0(VALU_DEP_3)
	v_lshl_or_b32 v7, v7, 9, 0x7c00
	s_or_b32 vcc_lo, s0, vcc_lo
	s_wait_alu 0xfffe
	v_add_co_ci_u32_e32 v10, vcc_lo, 0, v10, vcc_lo
	s_or_b32 vcc_lo, s2, s1
	s_wait_alu 0xfffe
	v_add_co_ci_u32_e32 v5, vcc_lo, 0, v5, vcc_lo
	v_cmp_gt_i32_e32 vcc_lo, 31, v9
	s_wait_alu 0xfffd
	v_cndmask_b32_e32 v10, 0x7c00, v10, vcc_lo
	v_cmp_gt_i32_e32 vcc_lo, 31, v11
	s_wait_alu 0xfffd
	v_cndmask_b32_e32 v5, 0x7c00, v5, vcc_lo
	v_cmp_eq_u32_e32 vcc_lo, 0x40f, v9
	s_wait_alu 0xfffd
	v_cndmask_b32_e32 v3, v10, v3, vcc_lo
	v_cmp_eq_u32_e32 vcc_lo, 0x40f, v11
	s_delay_alu instid0(VALU_DEP_2)
	v_and_or_b32 v3, 0x8000, v6, v3
	s_wait_alu 0xfffd
	v_cndmask_b32_e32 v5, v5, v7, vcc_lo
	v_add_co_u32 v0, vcc_lo, v0, s6
	s_wait_alu 0xfffd
	v_add_co_ci_u32_e32 v1, vcc_lo, s7, v1, vcc_lo
	s_delay_alu instid0(VALU_DEP_3) | instskip(SKIP_1) | instid1(VALU_DEP_1)
	v_and_or_b32 v5, 0x8000, v8, v5
	v_and_b32_e32 v3, 0xffff, v3
	v_lshl_or_b32 v3, v5, 16, v3
	v_lshrrev_b32_e32 v5, 16, v4
	global_store_b32 v[0:1], v3, off
	global_load_b32 v3, v[28:29], off offset:3160
	s_wait_loadcnt 0x0
	v_lshrrev_b32_e32 v6, 16, v3
	s_delay_alu instid0(VALU_DEP_1) | instskip(SKIP_1) | instid1(VALU_DEP_2)
	v_mul_f16_e32 v7, v5, v6
	v_mul_f16_e32 v6, v4, v6
	v_fmac_f16_e32 v7, v4, v3
	s_delay_alu instid0(VALU_DEP_2) | instskip(NEXT) | instid1(VALU_DEP_2)
	v_fma_f16 v3, v3, v5, -v6
	v_cvt_f32_f16_e32 v4, v7
	s_delay_alu instid0(VALU_DEP_2) | instskip(NEXT) | instid1(VALU_DEP_2)
	v_cvt_f32_f16_e32 v5, v3
	v_cvt_f64_f32_e32 v[3:4], v4
	s_delay_alu instid0(VALU_DEP_2) | instskip(NEXT) | instid1(VALU_DEP_2)
	v_cvt_f64_f32_e32 v[5:6], v5
	v_mul_f64_e32 v[3:4], s[8:9], v[3:4]
	s_delay_alu instid0(VALU_DEP_2) | instskip(NEXT) | instid1(VALU_DEP_2)
	v_mul_f64_e32 v[5:6], s[8:9], v[5:6]
	v_and_or_b32 v3, 0x1ff, v4, v3
	s_delay_alu instid0(VALU_DEP_2)
	v_and_or_b32 v5, 0x1ff, v6, v5
	v_lshrrev_b32_e32 v7, 8, v4
	v_bfe_u32 v8, v4, 20, 11
	v_lshrrev_b32_e32 v9, 8, v6
	v_cmp_ne_u32_e32 vcc_lo, 0, v3
	v_bfe_u32 v10, v6, 20, 11
	v_lshrrev_b32_e32 v4, 16, v4
	v_sub_nc_u32_e32 v11, 0x3f1, v8
	v_add_nc_u32_e32 v8, 0xfffffc10, v8
	s_wait_alu 0xfffd
	v_cndmask_b32_e64 v3, 0, 1, vcc_lo
	v_cmp_ne_u32_e32 vcc_lo, 0, v5
	v_lshrrev_b32_e32 v6, 16, v6
	s_delay_alu instid0(VALU_DEP_3) | instskip(SKIP_4) | instid1(VALU_DEP_3)
	v_and_or_b32 v3, 0xffe, v7, v3
	s_wait_alu 0xfffd
	v_cndmask_b32_e64 v5, 0, 1, vcc_lo
	v_sub_nc_u32_e32 v7, 0x3f1, v10
	v_add_nc_u32_e32 v10, 0xfffffc10, v10
	v_and_or_b32 v5, 0xffe, v9, v5
	v_med3_i32 v9, v11, 0, 13
	v_or_b32_e32 v11, 0x1000, v3
	v_med3_i32 v7, v7, 0, 13
	s_delay_alu instid0(VALU_DEP_4) | instskip(NEXT) | instid1(VALU_DEP_3)
	v_or_b32_e32 v12, 0x1000, v5
	v_lshrrev_b32_e32 v13, v9, v11
	s_delay_alu instid0(VALU_DEP_2) | instskip(NEXT) | instid1(VALU_DEP_2)
	v_lshrrev_b32_e32 v14, v7, v12
	v_lshlrev_b32_e32 v9, v9, v13
	s_delay_alu instid0(VALU_DEP_2) | instskip(NEXT) | instid1(VALU_DEP_2)
	v_lshlrev_b32_e32 v7, v7, v14
	v_cmp_ne_u32_e32 vcc_lo, v9, v11
	v_lshl_or_b32 v11, v8, 12, v3
	s_wait_alu 0xfffd
	v_cndmask_b32_e64 v9, 0, 1, vcc_lo
	v_cmp_ne_u32_e32 vcc_lo, v7, v12
	v_lshl_or_b32 v12, v10, 12, v5
	s_delay_alu instid0(VALU_DEP_3) | instskip(SKIP_3) | instid1(VALU_DEP_2)
	v_or_b32_e32 v9, v13, v9
	s_wait_alu 0xfffd
	v_cndmask_b32_e64 v7, 0, 1, vcc_lo
	v_cmp_gt_i32_e32 vcc_lo, 1, v8
	v_or_b32_e32 v7, v14, v7
	s_wait_alu 0xfffd
	v_cndmask_b32_e32 v9, v11, v9, vcc_lo
	v_cmp_gt_i32_e32 vcc_lo, 1, v10
	s_delay_alu instid0(VALU_DEP_2)
	v_and_b32_e32 v11, 7, v9
	s_wait_alu 0xfffd
	v_cndmask_b32_e32 v7, v12, v7, vcc_lo
	v_cmp_ne_u32_e32 vcc_lo, 0, v3
	v_lshrrev_b32_e32 v9, 2, v9
	v_cmp_eq_u32_e64 s0, 3, v11
	s_delay_alu instid0(VALU_DEP_4)
	v_and_b32_e32 v12, 7, v7
	s_wait_alu 0xfffd
	v_cndmask_b32_e64 v3, 0, 1, vcc_lo
	v_cmp_ne_u32_e32 vcc_lo, 0, v5
	v_lshrrev_b32_e32 v7, 2, v7
	v_cmp_lt_i32_e64 s1, 5, v12
	v_cmp_eq_u32_e64 s2, 3, v12
	s_wait_alu 0xfffd
	v_cndmask_b32_e64 v5, 0, 1, vcc_lo
	v_cmp_lt_i32_e32 vcc_lo, 5, v11
	v_lshl_or_b32 v3, v3, 9, 0x7c00
	s_delay_alu instid0(VALU_DEP_3)
	v_lshl_or_b32 v5, v5, 9, 0x7c00
	s_or_b32 vcc_lo, s0, vcc_lo
	s_wait_alu 0xfffe
	v_add_co_ci_u32_e32 v9, vcc_lo, 0, v9, vcc_lo
	s_or_b32 vcc_lo, s2, s1
	s_wait_alu 0xfffe
	v_add_co_ci_u32_e32 v7, vcc_lo, 0, v7, vcc_lo
	v_cmp_gt_i32_e32 vcc_lo, 31, v8
	s_wait_alu 0xfffd
	v_cndmask_b32_e32 v9, 0x7c00, v9, vcc_lo
	v_cmp_gt_i32_e32 vcc_lo, 31, v10
	s_wait_alu 0xfffd
	v_cndmask_b32_e32 v7, 0x7c00, v7, vcc_lo
	v_cmp_eq_u32_e32 vcc_lo, 0x40f, v8
	s_wait_alu 0xfffd
	v_cndmask_b32_e32 v3, v9, v3, vcc_lo
	v_cmp_eq_u32_e32 vcc_lo, 0x40f, v10
	s_delay_alu instid0(VALU_DEP_2)
	v_and_or_b32 v3, 0x8000, v4, v3
	s_wait_alu 0xfffd
	v_cndmask_b32_e32 v5, v7, v5, vcc_lo
	v_add_co_u32 v0, vcc_lo, v0, s6
	s_wait_alu 0xfffd
	v_add_co_ci_u32_e32 v1, vcc_lo, s7, v1, vcc_lo
	s_delay_alu instid0(VALU_DEP_3) | instskip(SKIP_1) | instid1(VALU_DEP_1)
	v_and_or_b32 v4, 0x8000, v6, v5
	v_and_b32_e32 v3, 0xffff, v3
	v_lshl_or_b32 v3, v4, 16, v3
	global_store_b32 v[0:1], v3, off
	global_load_b32 v4, v[28:29], off offset:3580
	ds_load_2addr_b32 v[2:3], v2 offset0:127 offset1:232
	s_wait_dscnt 0x0
	v_lshrrev_b32_e32 v5, 16, v2
	s_wait_loadcnt 0x0
	v_lshrrev_b32_e32 v6, 16, v4
	s_delay_alu instid0(VALU_DEP_1) | instskip(SKIP_1) | instid1(VALU_DEP_2)
	v_mul_f16_e32 v7, v5, v6
	v_mul_f16_e32 v6, v2, v6
	v_fmac_f16_e32 v7, v2, v4
	s_delay_alu instid0(VALU_DEP_2) | instskip(NEXT) | instid1(VALU_DEP_2)
	v_fma_f16 v2, v4, v5, -v6
	v_cvt_f32_f16_e32 v4, v7
	s_delay_alu instid0(VALU_DEP_2) | instskip(NEXT) | instid1(VALU_DEP_2)
	v_cvt_f32_f16_e32 v2, v2
	v_cvt_f64_f32_e32 v[4:5], v4
	s_delay_alu instid0(VALU_DEP_2) | instskip(NEXT) | instid1(VALU_DEP_2)
	v_cvt_f64_f32_e32 v[6:7], v2
	v_mul_f64_e32 v[4:5], s[8:9], v[4:5]
	s_delay_alu instid0(VALU_DEP_2) | instskip(NEXT) | instid1(VALU_DEP_2)
	v_mul_f64_e32 v[6:7], s[8:9], v[6:7]
	v_and_or_b32 v2, 0x1ff, v5, v4
	s_delay_alu instid0(VALU_DEP_2)
	v_and_or_b32 v6, 0x1ff, v7, v6
	v_lshrrev_b32_e32 v4, 8, v5
	v_bfe_u32 v8, v5, 20, 11
	v_lshrrev_b32_e32 v9, 8, v7
	v_cmp_ne_u32_e32 vcc_lo, 0, v2
	v_bfe_u32 v10, v7, 20, 11
	v_lshrrev_b32_e32 v5, 16, v5
	v_sub_nc_u32_e32 v11, 0x3f1, v8
	v_add_nc_u32_e32 v8, 0xfffffc10, v8
	s_wait_alu 0xfffd
	v_cndmask_b32_e64 v2, 0, 1, vcc_lo
	v_cmp_ne_u32_e32 vcc_lo, 0, v6
	v_lshrrev_b32_e32 v7, 16, v7
	s_delay_alu instid0(VALU_DEP_3) | instskip(SKIP_4) | instid1(VALU_DEP_3)
	v_and_or_b32 v2, 0xffe, v4, v2
	s_wait_alu 0xfffd
	v_cndmask_b32_e64 v6, 0, 1, vcc_lo
	v_sub_nc_u32_e32 v4, 0x3f1, v10
	v_add_nc_u32_e32 v10, 0xfffffc10, v10
	v_and_or_b32 v6, 0xffe, v9, v6
	v_med3_i32 v9, v11, 0, 13
	v_or_b32_e32 v11, 0x1000, v2
	v_med3_i32 v4, v4, 0, 13
	s_delay_alu instid0(VALU_DEP_4) | instskip(NEXT) | instid1(VALU_DEP_3)
	v_or_b32_e32 v12, 0x1000, v6
	v_lshrrev_b32_e32 v13, v9, v11
	s_delay_alu instid0(VALU_DEP_2) | instskip(NEXT) | instid1(VALU_DEP_2)
	v_lshrrev_b32_e32 v14, v4, v12
	v_lshlrev_b32_e32 v9, v9, v13
	s_delay_alu instid0(VALU_DEP_2) | instskip(NEXT) | instid1(VALU_DEP_2)
	v_lshlrev_b32_e32 v4, v4, v14
	v_cmp_ne_u32_e32 vcc_lo, v9, v11
	v_lshl_or_b32 v11, v8, 12, v2
	s_wait_alu 0xfffd
	v_cndmask_b32_e64 v9, 0, 1, vcc_lo
	v_cmp_ne_u32_e32 vcc_lo, v4, v12
	v_lshl_or_b32 v12, v10, 12, v6
	s_delay_alu instid0(VALU_DEP_3) | instskip(SKIP_3) | instid1(VALU_DEP_2)
	v_or_b32_e32 v9, v13, v9
	s_wait_alu 0xfffd
	v_cndmask_b32_e64 v4, 0, 1, vcc_lo
	v_cmp_gt_i32_e32 vcc_lo, 1, v8
	v_or_b32_e32 v4, v14, v4
	s_wait_alu 0xfffd
	v_cndmask_b32_e32 v9, v11, v9, vcc_lo
	v_cmp_gt_i32_e32 vcc_lo, 1, v10
	s_wait_alu 0xfffd
	s_delay_alu instid0(VALU_DEP_2) | instskip(SKIP_2) | instid1(VALU_DEP_3)
	v_dual_cndmask_b32 v4, v12, v4 :: v_dual_and_b32 v11, 7, v9
	v_cmp_ne_u32_e32 vcc_lo, 0, v2
	v_lshrrev_b32_e32 v9, 2, v9
	v_cmp_eq_u32_e64 s0, 3, v11
	s_delay_alu instid0(VALU_DEP_4)
	v_and_b32_e32 v12, 7, v4
	s_wait_alu 0xfffd
	v_cndmask_b32_e64 v2, 0, 1, vcc_lo
	v_cmp_ne_u32_e32 vcc_lo, 0, v6
	v_lshrrev_b32_e32 v4, 2, v4
	v_cmp_lt_i32_e64 s1, 5, v12
	v_cmp_eq_u32_e64 s2, 3, v12
	s_wait_alu 0xfffd
	v_cndmask_b32_e64 v6, 0, 1, vcc_lo
	v_cmp_lt_i32_e32 vcc_lo, 5, v11
	v_lshl_or_b32 v2, v2, 9, 0x7c00
	s_delay_alu instid0(VALU_DEP_3)
	v_lshl_or_b32 v6, v6, 9, 0x7c00
	s_or_b32 vcc_lo, s0, vcc_lo
	s_wait_alu 0xfffe
	v_add_co_ci_u32_e32 v9, vcc_lo, 0, v9, vcc_lo
	s_or_b32 vcc_lo, s2, s1
	s_wait_alu 0xfffe
	v_add_co_ci_u32_e32 v4, vcc_lo, 0, v4, vcc_lo
	v_cmp_gt_i32_e32 vcc_lo, 31, v8
	s_wait_alu 0xfffd
	v_cndmask_b32_e32 v9, 0x7c00, v9, vcc_lo
	v_cmp_gt_i32_e32 vcc_lo, 31, v10
	s_wait_alu 0xfffd
	v_cndmask_b32_e32 v4, 0x7c00, v4, vcc_lo
	v_cmp_eq_u32_e32 vcc_lo, 0x40f, v8
	s_wait_alu 0xfffd
	v_cndmask_b32_e32 v2, v9, v2, vcc_lo
	v_cmp_eq_u32_e32 vcc_lo, 0x40f, v10
	s_delay_alu instid0(VALU_DEP_2)
	v_and_or_b32 v2, 0x8000, v5, v2
	s_wait_alu 0xfffd
	v_cndmask_b32_e32 v4, v4, v6, vcc_lo
	v_add_co_u32 v0, vcc_lo, v0, s6
	s_wait_alu 0xfffd
	v_add_co_ci_u32_e32 v1, vcc_lo, s7, v1, vcc_lo
	s_delay_alu instid0(VALU_DEP_3) | instskip(SKIP_1) | instid1(VALU_DEP_1)
	v_and_or_b32 v4, 0x8000, v7, v4
	v_and_b32_e32 v2, 0xffff, v2
	v_lshl_or_b32 v2, v4, 16, v2
	v_lshrrev_b32_e32 v4, 16, v3
	global_store_b32 v[0:1], v2, off
	global_load_b32 v2, v[28:29], off offset:4000
	s_wait_loadcnt 0x0
	v_lshrrev_b32_e32 v5, 16, v2
	s_delay_alu instid0(VALU_DEP_1) | instskip(SKIP_1) | instid1(VALU_DEP_2)
	v_mul_f16_e32 v6, v4, v5
	v_mul_f16_e32 v5, v3, v5
	v_fmac_f16_e32 v6, v3, v2
	s_delay_alu instid0(VALU_DEP_2) | instskip(NEXT) | instid1(VALU_DEP_2)
	v_fma_f16 v2, v2, v4, -v5
	v_cvt_f32_f16_e32 v3, v6
	s_delay_alu instid0(VALU_DEP_2) | instskip(NEXT) | instid1(VALU_DEP_2)
	v_cvt_f32_f16_e32 v4, v2
	v_cvt_f64_f32_e32 v[2:3], v3
	s_delay_alu instid0(VALU_DEP_2) | instskip(NEXT) | instid1(VALU_DEP_2)
	v_cvt_f64_f32_e32 v[4:5], v4
	v_mul_f64_e32 v[2:3], s[8:9], v[2:3]
	s_delay_alu instid0(VALU_DEP_2) | instskip(NEXT) | instid1(VALU_DEP_2)
	v_mul_f64_e32 v[4:5], s[8:9], v[4:5]
	v_and_or_b32 v2, 0x1ff, v3, v2
	s_delay_alu instid0(VALU_DEP_2)
	v_and_or_b32 v4, 0x1ff, v5, v4
	v_lshrrev_b32_e32 v6, 8, v3
	v_bfe_u32 v7, v3, 20, 11
	v_lshrrev_b32_e32 v8, 8, v5
	v_cmp_ne_u32_e32 vcc_lo, 0, v2
	v_bfe_u32 v9, v5, 20, 11
	v_lshrrev_b32_e32 v3, 16, v3
	v_sub_nc_u32_e32 v10, 0x3f1, v7
	v_add_nc_u32_e32 v7, 0xfffffc10, v7
	s_wait_alu 0xfffd
	v_cndmask_b32_e64 v2, 0, 1, vcc_lo
	v_cmp_ne_u32_e32 vcc_lo, 0, v4
	v_lshrrev_b32_e32 v5, 16, v5
	s_delay_alu instid0(VALU_DEP_3) | instskip(SKIP_4) | instid1(VALU_DEP_3)
	v_and_or_b32 v2, 0xffe, v6, v2
	s_wait_alu 0xfffd
	v_cndmask_b32_e64 v4, 0, 1, vcc_lo
	v_sub_nc_u32_e32 v6, 0x3f1, v9
	v_add_nc_u32_e32 v9, 0xfffffc10, v9
	v_and_or_b32 v4, 0xffe, v8, v4
	v_med3_i32 v8, v10, 0, 13
	v_or_b32_e32 v10, 0x1000, v2
	v_med3_i32 v6, v6, 0, 13
	s_delay_alu instid0(VALU_DEP_4) | instskip(NEXT) | instid1(VALU_DEP_3)
	v_or_b32_e32 v11, 0x1000, v4
	v_lshrrev_b32_e32 v12, v8, v10
	s_delay_alu instid0(VALU_DEP_2) | instskip(NEXT) | instid1(VALU_DEP_2)
	v_lshrrev_b32_e32 v13, v6, v11
	v_lshlrev_b32_e32 v8, v8, v12
	s_delay_alu instid0(VALU_DEP_2) | instskip(NEXT) | instid1(VALU_DEP_2)
	v_lshlrev_b32_e32 v6, v6, v13
	v_cmp_ne_u32_e32 vcc_lo, v8, v10
	v_lshl_or_b32 v10, v7, 12, v2
	s_wait_alu 0xfffd
	v_cndmask_b32_e64 v8, 0, 1, vcc_lo
	v_cmp_ne_u32_e32 vcc_lo, v6, v11
	v_lshl_or_b32 v11, v9, 12, v4
	s_delay_alu instid0(VALU_DEP_3) | instskip(SKIP_3) | instid1(VALU_DEP_2)
	v_or_b32_e32 v8, v12, v8
	s_wait_alu 0xfffd
	v_cndmask_b32_e64 v6, 0, 1, vcc_lo
	v_cmp_gt_i32_e32 vcc_lo, 1, v7
	v_or_b32_e32 v6, v13, v6
	s_wait_alu 0xfffd
	v_cndmask_b32_e32 v8, v10, v8, vcc_lo
	v_cmp_gt_i32_e32 vcc_lo, 1, v9
	s_delay_alu instid0(VALU_DEP_2)
	v_and_b32_e32 v10, 7, v8
	s_wait_alu 0xfffd
	v_cndmask_b32_e32 v6, v11, v6, vcc_lo
	v_cmp_ne_u32_e32 vcc_lo, 0, v2
	v_lshrrev_b32_e32 v8, 2, v8
	v_cmp_eq_u32_e64 s0, 3, v10
	s_delay_alu instid0(VALU_DEP_4)
	v_and_b32_e32 v11, 7, v6
	s_wait_alu 0xfffd
	v_cndmask_b32_e64 v2, 0, 1, vcc_lo
	v_cmp_ne_u32_e32 vcc_lo, 0, v4
	v_lshrrev_b32_e32 v6, 2, v6
	v_cmp_lt_i32_e64 s1, 5, v11
	v_cmp_eq_u32_e64 s2, 3, v11
	s_wait_alu 0xfffd
	v_cndmask_b32_e64 v4, 0, 1, vcc_lo
	v_cmp_lt_i32_e32 vcc_lo, 5, v10
	v_lshl_or_b32 v2, v2, 9, 0x7c00
	s_delay_alu instid0(VALU_DEP_3)
	v_lshl_or_b32 v4, v4, 9, 0x7c00
	s_or_b32 vcc_lo, s0, vcc_lo
	s_wait_alu 0xfffe
	v_add_co_ci_u32_e32 v8, vcc_lo, 0, v8, vcc_lo
	s_or_b32 vcc_lo, s2, s1
	s_wait_alu 0xfffe
	v_add_co_ci_u32_e32 v6, vcc_lo, 0, v6, vcc_lo
	v_cmp_gt_i32_e32 vcc_lo, 31, v7
	s_wait_alu 0xfffd
	v_cndmask_b32_e32 v8, 0x7c00, v8, vcc_lo
	v_cmp_gt_i32_e32 vcc_lo, 31, v9
	s_wait_alu 0xfffd
	v_cndmask_b32_e32 v6, 0x7c00, v6, vcc_lo
	v_cmp_eq_u32_e32 vcc_lo, 0x40f, v7
	s_wait_alu 0xfffd
	v_cndmask_b32_e32 v2, v8, v2, vcc_lo
	v_cmp_eq_u32_e32 vcc_lo, 0x40f, v9
	s_delay_alu instid0(VALU_DEP_2)
	v_and_or_b32 v2, 0x8000, v3, v2
	s_wait_alu 0xfffd
	v_cndmask_b32_e32 v4, v6, v4, vcc_lo
	v_add_co_u32 v0, vcc_lo, v0, s6
	s_wait_alu 0xfffd
	v_add_co_ci_u32_e32 v1, vcc_lo, s7, v1, vcc_lo
	s_delay_alu instid0(VALU_DEP_3) | instskip(SKIP_1) | instid1(VALU_DEP_1)
	v_and_or_b32 v3, 0x8000, v5, v4
	v_and_b32_e32 v2, 0xffff, v2
	v_lshl_or_b32 v2, v3, 16, v2
	ds_load_b32 v3, v75 offset:4420
	global_store_b32 v[0:1], v2, off
	global_load_b32 v2, v[28:29], off offset:4420
	s_wait_dscnt 0x0
	v_lshrrev_b32_e32 v4, 16, v3
	s_wait_loadcnt 0x0
	v_lshrrev_b32_e32 v5, 16, v2
	s_delay_alu instid0(VALU_DEP_1) | instskip(SKIP_1) | instid1(VALU_DEP_2)
	v_mul_f16_e32 v6, v4, v5
	v_mul_f16_e32 v5, v3, v5
	v_fmac_f16_e32 v6, v3, v2
	s_delay_alu instid0(VALU_DEP_2) | instskip(NEXT) | instid1(VALU_DEP_2)
	v_fma_f16 v2, v2, v4, -v5
	v_cvt_f32_f16_e32 v3, v6
	s_delay_alu instid0(VALU_DEP_2) | instskip(NEXT) | instid1(VALU_DEP_2)
	v_cvt_f32_f16_e32 v4, v2
	v_cvt_f64_f32_e32 v[2:3], v3
	s_delay_alu instid0(VALU_DEP_2) | instskip(NEXT) | instid1(VALU_DEP_2)
	v_cvt_f64_f32_e32 v[4:5], v4
	v_mul_f64_e32 v[2:3], s[8:9], v[2:3]
	s_delay_alu instid0(VALU_DEP_2) | instskip(NEXT) | instid1(VALU_DEP_2)
	v_mul_f64_e32 v[4:5], s[8:9], v[4:5]
	v_and_or_b32 v2, 0x1ff, v3, v2
	s_delay_alu instid0(VALU_DEP_2)
	v_and_or_b32 v4, 0x1ff, v5, v4
	v_lshrrev_b32_e32 v6, 8, v3
	v_bfe_u32 v7, v3, 20, 11
	v_lshrrev_b32_e32 v8, 8, v5
	v_cmp_ne_u32_e32 vcc_lo, 0, v2
	v_bfe_u32 v9, v5, 20, 11
	v_lshrrev_b32_e32 v3, 16, v3
	v_sub_nc_u32_e32 v10, 0x3f1, v7
	v_add_nc_u32_e32 v7, 0xfffffc10, v7
	s_wait_alu 0xfffd
	v_cndmask_b32_e64 v2, 0, 1, vcc_lo
	v_cmp_ne_u32_e32 vcc_lo, 0, v4
	v_lshrrev_b32_e32 v5, 16, v5
	s_delay_alu instid0(VALU_DEP_3) | instskip(SKIP_4) | instid1(VALU_DEP_3)
	v_and_or_b32 v2, 0xffe, v6, v2
	s_wait_alu 0xfffd
	v_cndmask_b32_e64 v4, 0, 1, vcc_lo
	v_sub_nc_u32_e32 v6, 0x3f1, v9
	v_add_nc_u32_e32 v9, 0xfffffc10, v9
	v_and_or_b32 v4, 0xffe, v8, v4
	v_med3_i32 v8, v10, 0, 13
	v_or_b32_e32 v10, 0x1000, v2
	v_med3_i32 v6, v6, 0, 13
	s_delay_alu instid0(VALU_DEP_4) | instskip(NEXT) | instid1(VALU_DEP_3)
	v_or_b32_e32 v11, 0x1000, v4
	v_lshrrev_b32_e32 v12, v8, v10
	s_delay_alu instid0(VALU_DEP_2) | instskip(NEXT) | instid1(VALU_DEP_2)
	v_lshrrev_b32_e32 v13, v6, v11
	v_lshlrev_b32_e32 v8, v8, v12
	s_delay_alu instid0(VALU_DEP_2) | instskip(NEXT) | instid1(VALU_DEP_2)
	v_lshlrev_b32_e32 v6, v6, v13
	v_cmp_ne_u32_e32 vcc_lo, v8, v10
	v_lshl_or_b32 v10, v7, 12, v2
	s_wait_alu 0xfffd
	v_cndmask_b32_e64 v8, 0, 1, vcc_lo
	v_cmp_ne_u32_e32 vcc_lo, v6, v11
	v_lshl_or_b32 v11, v9, 12, v4
	s_delay_alu instid0(VALU_DEP_3) | instskip(SKIP_3) | instid1(VALU_DEP_2)
	v_or_b32_e32 v8, v12, v8
	s_wait_alu 0xfffd
	v_cndmask_b32_e64 v6, 0, 1, vcc_lo
	v_cmp_gt_i32_e32 vcc_lo, 1, v7
	v_or_b32_e32 v6, v13, v6
	s_wait_alu 0xfffd
	v_cndmask_b32_e32 v8, v10, v8, vcc_lo
	v_cmp_gt_i32_e32 vcc_lo, 1, v9
	s_delay_alu instid0(VALU_DEP_2)
	v_and_b32_e32 v10, 7, v8
	s_wait_alu 0xfffd
	v_cndmask_b32_e32 v6, v11, v6, vcc_lo
	v_cmp_ne_u32_e32 vcc_lo, 0, v2
	v_lshrrev_b32_e32 v8, 2, v8
	v_cmp_eq_u32_e64 s0, 3, v10
	s_delay_alu instid0(VALU_DEP_4)
	v_and_b32_e32 v11, 7, v6
	s_wait_alu 0xfffd
	v_cndmask_b32_e64 v2, 0, 1, vcc_lo
	v_cmp_ne_u32_e32 vcc_lo, 0, v4
	v_lshrrev_b32_e32 v6, 2, v6
	v_cmp_lt_i32_e64 s1, 5, v11
	v_cmp_eq_u32_e64 s2, 3, v11
	s_wait_alu 0xfffd
	v_cndmask_b32_e64 v4, 0, 1, vcc_lo
	v_cmp_lt_i32_e32 vcc_lo, 5, v10
	v_lshl_or_b32 v2, v2, 9, 0x7c00
	s_delay_alu instid0(VALU_DEP_3)
	v_lshl_or_b32 v4, v4, 9, 0x7c00
	s_or_b32 vcc_lo, s0, vcc_lo
	s_wait_alu 0xfffe
	v_add_co_ci_u32_e32 v8, vcc_lo, 0, v8, vcc_lo
	s_or_b32 vcc_lo, s2, s1
	s_wait_alu 0xfffe
	v_add_co_ci_u32_e32 v6, vcc_lo, 0, v6, vcc_lo
	v_cmp_gt_i32_e32 vcc_lo, 31, v7
	s_wait_alu 0xfffd
	v_cndmask_b32_e32 v8, 0x7c00, v8, vcc_lo
	v_cmp_gt_i32_e32 vcc_lo, 31, v9
	s_wait_alu 0xfffd
	v_cndmask_b32_e32 v6, 0x7c00, v6, vcc_lo
	v_cmp_eq_u32_e32 vcc_lo, 0x40f, v7
	s_wait_alu 0xfffd
	v_cndmask_b32_e32 v2, v8, v2, vcc_lo
	v_cmp_eq_u32_e32 vcc_lo, 0x40f, v9
	s_delay_alu instid0(VALU_DEP_2)
	v_and_or_b32 v2, 0x8000, v3, v2
	s_wait_alu 0xfffd
	v_cndmask_b32_e32 v4, v6, v4, vcc_lo
	v_add_co_u32 v0, vcc_lo, v0, s6
	s_wait_alu 0xfffd
	v_add_co_ci_u32_e32 v1, vcc_lo, s7, v1, vcc_lo
	s_delay_alu instid0(VALU_DEP_3) | instskip(SKIP_1) | instid1(VALU_DEP_1)
	v_and_or_b32 v3, 0x8000, v5, v4
	v_and_b32_e32 v2, 0xffff, v2
	v_lshl_or_b32 v2, v3, 16, v2
	global_store_b32 v[0:1], v2, off
.LBB0_23:
	s_nop 0
	s_sendmsg sendmsg(MSG_DEALLOC_VGPRS)
	s_endpgm
	.section	.rodata,"a",@progbits
	.p2align	6, 0x0
	.amdhsa_kernel bluestein_single_fwd_len1155_dim1_half_op_CI_CI
		.amdhsa_group_segment_fixed_size 4620
		.amdhsa_private_segment_fixed_size 0
		.amdhsa_kernarg_size 104
		.amdhsa_user_sgpr_count 2
		.amdhsa_user_sgpr_dispatch_ptr 0
		.amdhsa_user_sgpr_queue_ptr 0
		.amdhsa_user_sgpr_kernarg_segment_ptr 1
		.amdhsa_user_sgpr_dispatch_id 0
		.amdhsa_user_sgpr_private_segment_size 0
		.amdhsa_wavefront_size32 1
		.amdhsa_uses_dynamic_stack 0
		.amdhsa_enable_private_segment 0
		.amdhsa_system_sgpr_workgroup_id_x 1
		.amdhsa_system_sgpr_workgroup_id_y 0
		.amdhsa_system_sgpr_workgroup_id_z 0
		.amdhsa_system_sgpr_workgroup_info 0
		.amdhsa_system_vgpr_workitem_id 0
		.amdhsa_next_free_vgpr 243
		.amdhsa_next_free_sgpr 16
		.amdhsa_reserve_vcc 1
		.amdhsa_float_round_mode_32 0
		.amdhsa_float_round_mode_16_64 0
		.amdhsa_float_denorm_mode_32 3
		.amdhsa_float_denorm_mode_16_64 3
		.amdhsa_fp16_overflow 0
		.amdhsa_workgroup_processor_mode 1
		.amdhsa_memory_ordered 1
		.amdhsa_forward_progress 0
		.amdhsa_round_robin_scheduling 0
		.amdhsa_exception_fp_ieee_invalid_op 0
		.amdhsa_exception_fp_denorm_src 0
		.amdhsa_exception_fp_ieee_div_zero 0
		.amdhsa_exception_fp_ieee_overflow 0
		.amdhsa_exception_fp_ieee_underflow 0
		.amdhsa_exception_fp_ieee_inexact 0
		.amdhsa_exception_int_div_zero 0
	.end_amdhsa_kernel
	.text
.Lfunc_end0:
	.size	bluestein_single_fwd_len1155_dim1_half_op_CI_CI, .Lfunc_end0-bluestein_single_fwd_len1155_dim1_half_op_CI_CI
                                        ; -- End function
	.section	.AMDGPU.csdata,"",@progbits
; Kernel info:
; codeLenInByte = 46816
; NumSgprs: 18
; NumVgprs: 243
; ScratchSize: 0
; MemoryBound: 0
; FloatMode: 240
; IeeeMode: 1
; LDSByteSize: 4620 bytes/workgroup (compile time only)
; SGPRBlocks: 2
; VGPRBlocks: 30
; NumSGPRsForWavesPerEU: 18
; NumVGPRsForWavesPerEU: 243
; Occupancy: 5
; WaveLimiterHint : 1
; COMPUTE_PGM_RSRC2:SCRATCH_EN: 0
; COMPUTE_PGM_RSRC2:USER_SGPR: 2
; COMPUTE_PGM_RSRC2:TRAP_HANDLER: 0
; COMPUTE_PGM_RSRC2:TGID_X_EN: 1
; COMPUTE_PGM_RSRC2:TGID_Y_EN: 0
; COMPUTE_PGM_RSRC2:TGID_Z_EN: 0
; COMPUTE_PGM_RSRC2:TIDIG_COMP_CNT: 0
	.text
	.p2alignl 7, 3214868480
	.fill 96, 4, 3214868480
	.type	__hip_cuid_74cea33c10e899cd,@object ; @__hip_cuid_74cea33c10e899cd
	.section	.bss,"aw",@nobits
	.globl	__hip_cuid_74cea33c10e899cd
__hip_cuid_74cea33c10e899cd:
	.byte	0                               ; 0x0
	.size	__hip_cuid_74cea33c10e899cd, 1

	.ident	"AMD clang version 19.0.0git (https://github.com/RadeonOpenCompute/llvm-project roc-6.4.0 25133 c7fe45cf4b819c5991fe208aaa96edf142730f1d)"
	.section	".note.GNU-stack","",@progbits
	.addrsig
	.addrsig_sym __hip_cuid_74cea33c10e899cd
	.amdgpu_metadata
---
amdhsa.kernels:
  - .args:
      - .actual_access:  read_only
        .address_space:  global
        .offset:         0
        .size:           8
        .value_kind:     global_buffer
      - .actual_access:  read_only
        .address_space:  global
        .offset:         8
        .size:           8
        .value_kind:     global_buffer
      - .actual_access:  read_only
        .address_space:  global
        .offset:         16
        .size:           8
        .value_kind:     global_buffer
      - .actual_access:  read_only
        .address_space:  global
        .offset:         24
        .size:           8
        .value_kind:     global_buffer
      - .actual_access:  read_only
        .address_space:  global
        .offset:         32
        .size:           8
        .value_kind:     global_buffer
      - .offset:         40
        .size:           8
        .value_kind:     by_value
      - .address_space:  global
        .offset:         48
        .size:           8
        .value_kind:     global_buffer
      - .address_space:  global
        .offset:         56
        .size:           8
        .value_kind:     global_buffer
      - .address_space:  global
        .offset:         64
        .size:           8
        .value_kind:     global_buffer
      - .address_space:  global
        .offset:         72
        .size:           8
        .value_kind:     global_buffer
      - .offset:         80
        .size:           4
        .value_kind:     by_value
      - .address_space:  global
        .offset:         88
        .size:           8
        .value_kind:     global_buffer
      - .address_space:  global
        .offset:         96
        .size:           8
        .value_kind:     global_buffer
    .group_segment_fixed_size: 4620
    .kernarg_segment_align: 8
    .kernarg_segment_size: 104
    .language:       OpenCL C
    .language_version:
      - 2
      - 0
    .max_flat_workgroup_size: 55
    .name:           bluestein_single_fwd_len1155_dim1_half_op_CI_CI
    .private_segment_fixed_size: 0
    .sgpr_count:     18
    .sgpr_spill_count: 0
    .symbol:         bluestein_single_fwd_len1155_dim1_half_op_CI_CI.kd
    .uniform_work_group_size: 1
    .uses_dynamic_stack: false
    .vgpr_count:     243
    .vgpr_spill_count: 0
    .wavefront_size: 32
    .workgroup_processor_mode: 1
amdhsa.target:   amdgcn-amd-amdhsa--gfx1201
amdhsa.version:
  - 1
  - 2
...

	.end_amdgpu_metadata
